;; amdgpu-corpus repo=ROCm/rocFFT kind=compiled arch=gfx950 opt=O3
	.text
	.amdgcn_target "amdgcn-amd-amdhsa--gfx950"
	.amdhsa_code_object_version 6
	.protected	fft_rtc_back_len3750_factors_3_5_5_10_5_wgs_125_tpt_125_halfLds_dp_op_CI_CI_unitstride_sbrr_R2C_dirReg ; -- Begin function fft_rtc_back_len3750_factors_3_5_5_10_5_wgs_125_tpt_125_halfLds_dp_op_CI_CI_unitstride_sbrr_R2C_dirReg
	.globl	fft_rtc_back_len3750_factors_3_5_5_10_5_wgs_125_tpt_125_halfLds_dp_op_CI_CI_unitstride_sbrr_R2C_dirReg
	.p2align	8
	.type	fft_rtc_back_len3750_factors_3_5_5_10_5_wgs_125_tpt_125_halfLds_dp_op_CI_CI_unitstride_sbrr_R2C_dirReg,@function
fft_rtc_back_len3750_factors_3_5_5_10_5_wgs_125_tpt_125_halfLds_dp_op_CI_CI_unitstride_sbrr_R2C_dirReg: ; @fft_rtc_back_len3750_factors_3_5_5_10_5_wgs_125_tpt_125_halfLds_dp_op_CI_CI_unitstride_sbrr_R2C_dirReg
; %bb.0:
	s_load_dwordx4 s[4:7], s[0:1], 0x58
	s_load_dwordx4 s[8:11], s[0:1], 0x0
	;; [unrolled: 1-line block ×3, first 2 shown]
	v_mul_u32_u24_e32 v1, 0x20d, v0
	v_add_u32_sdwa v6, s2, v1 dst_sel:DWORD dst_unused:UNUSED_PAD src0_sel:DWORD src1_sel:WORD_1
	v_mov_b32_e32 v4, 0
	s_waitcnt lgkmcnt(0)
	v_cmp_lt_u64_e64 s[2:3], s[10:11], 2
	v_mov_b32_e32 v7, v4
	s_and_b64 vcc, exec, s[2:3]
	v_mov_b64_e32 v[2:3], 0
	s_cbranch_vccnz .LBB0_8
; %bb.1:
	s_load_dwordx2 s[2:3], s[0:1], 0x10
	s_add_u32 s16, s14, 8
	s_addc_u32 s17, s15, 0
	s_add_u32 s18, s12, 8
	s_addc_u32 s19, s13, 0
	s_waitcnt lgkmcnt(0)
	s_add_u32 s20, s2, 8
	v_mov_b64_e32 v[2:3], 0
	s_addc_u32 s21, s3, 0
	s_mov_b64 s[22:23], 1
	v_mov_b64_e32 v[200:201], v[2:3]
.LBB0_2:                                ; =>This Inner Loop Header: Depth=1
	s_load_dwordx2 s[24:25], s[20:21], 0x0
                                        ; implicit-def: $vgpr204_vgpr205
	s_waitcnt lgkmcnt(0)
	v_or_b32_e32 v5, s25, v7
	v_cmp_ne_u64_e32 vcc, 0, v[4:5]
	s_and_saveexec_b64 s[2:3], vcc
	s_xor_b64 s[26:27], exec, s[2:3]
	s_cbranch_execz .LBB0_4
; %bb.3:                                ;   in Loop: Header=BB0_2 Depth=1
	v_cvt_f32_u32_e32 v1, s24
	v_cvt_f32_u32_e32 v5, s25
	s_sub_u32 s2, 0, s24
	s_subb_u32 s3, 0, s25
	v_fmac_f32_e32 v1, 0x4f800000, v5
	v_rcp_f32_e32 v1, v1
	s_nop 0
	v_mul_f32_e32 v1, 0x5f7ffffc, v1
	v_mul_f32_e32 v5, 0x2f800000, v1
	v_trunc_f32_e32 v5, v5
	v_fmac_f32_e32 v1, 0xcf800000, v5
	v_cvt_u32_f32_e32 v5, v5
	v_cvt_u32_f32_e32 v1, v1
	v_mul_lo_u32 v8, s2, v5
	v_mul_hi_u32 v10, s2, v1
	v_mul_lo_u32 v9, s3, v1
	v_add_u32_e32 v10, v10, v8
	v_mul_lo_u32 v12, s2, v1
	v_add_u32_e32 v13, v10, v9
	v_mul_hi_u32 v8, v1, v12
	v_mul_hi_u32 v11, v1, v13
	v_mul_lo_u32 v10, v1, v13
	v_mov_b32_e32 v9, v4
	v_lshl_add_u64 v[8:9], v[8:9], 0, v[10:11]
	v_mul_hi_u32 v11, v5, v12
	v_mul_lo_u32 v12, v5, v12
	v_add_co_u32_e32 v8, vcc, v8, v12
	v_mul_hi_u32 v10, v5, v13
	s_nop 0
	v_addc_co_u32_e32 v8, vcc, v9, v11, vcc
	v_mov_b32_e32 v9, v4
	s_nop 0
	v_addc_co_u32_e32 v11, vcc, 0, v10, vcc
	v_mul_lo_u32 v10, v5, v13
	v_lshl_add_u64 v[8:9], v[8:9], 0, v[10:11]
	v_add_co_u32_e32 v1, vcc, v1, v8
	v_mul_lo_u32 v10, s2, v1
	s_nop 0
	v_addc_co_u32_e32 v5, vcc, v5, v9, vcc
	v_mul_lo_u32 v8, s2, v5
	v_mul_hi_u32 v9, s2, v1
	v_add_u32_e32 v8, v9, v8
	v_mul_lo_u32 v9, s3, v1
	v_add_u32_e32 v12, v8, v9
	v_mul_hi_u32 v14, v5, v10
	v_mul_lo_u32 v15, v5, v10
	v_mul_hi_u32 v9, v1, v12
	v_mul_lo_u32 v8, v1, v12
	v_mul_hi_u32 v10, v1, v10
	v_mov_b32_e32 v11, v4
	v_lshl_add_u64 v[8:9], v[10:11], 0, v[8:9]
	v_add_co_u32_e32 v8, vcc, v8, v15
	v_mul_hi_u32 v13, v5, v12
	s_nop 0
	v_addc_co_u32_e32 v8, vcc, v9, v14, vcc
	v_mul_lo_u32 v10, v5, v12
	s_nop 0
	v_addc_co_u32_e32 v11, vcc, 0, v13, vcc
	v_mov_b32_e32 v9, v4
	v_lshl_add_u64 v[8:9], v[8:9], 0, v[10:11]
	v_add_co_u32_e32 v1, vcc, v1, v8
	v_mul_hi_u32 v10, v6, v1
	s_nop 0
	v_addc_co_u32_e32 v5, vcc, v5, v9, vcc
	v_mad_u64_u32 v[8:9], s[2:3], v6, v5, 0
	v_mov_b32_e32 v11, v4
	v_lshl_add_u64 v[8:9], v[10:11], 0, v[8:9]
	v_mad_u64_u32 v[12:13], s[2:3], v7, v1, 0
	v_add_co_u32_e32 v1, vcc, v8, v12
	v_mad_u64_u32 v[10:11], s[2:3], v7, v5, 0
	s_nop 0
	v_addc_co_u32_e32 v8, vcc, v9, v13, vcc
	v_mov_b32_e32 v9, v4
	s_nop 0
	v_addc_co_u32_e32 v11, vcc, 0, v11, vcc
	v_lshl_add_u64 v[8:9], v[8:9], 0, v[10:11]
	v_mul_lo_u32 v1, s25, v8
	v_mul_lo_u32 v5, s24, v9
	v_mad_u64_u32 v[10:11], s[2:3], s24, v8, 0
	v_add3_u32 v1, v11, v5, v1
	v_sub_u32_e32 v5, v7, v1
	v_mov_b32_e32 v11, s25
	v_sub_co_u32_e32 v14, vcc, v6, v10
	v_lshl_add_u64 v[12:13], v[8:9], 0, 1
	s_nop 0
	v_subb_co_u32_e64 v5, s[2:3], v5, v11, vcc
	v_subrev_co_u32_e64 v10, s[2:3], s24, v14
	v_subb_co_u32_e32 v1, vcc, v7, v1, vcc
	s_nop 0
	v_subbrev_co_u32_e64 v5, s[2:3], 0, v5, s[2:3]
	v_cmp_le_u32_e64 s[2:3], s25, v5
	v_cmp_le_u32_e32 vcc, s25, v1
	s_nop 0
	v_cndmask_b32_e64 v11, 0, -1, s[2:3]
	v_cmp_le_u32_e64 s[2:3], s24, v10
	s_nop 1
	v_cndmask_b32_e64 v10, 0, -1, s[2:3]
	v_cmp_eq_u32_e64 s[2:3], s25, v5
	s_nop 1
	v_cndmask_b32_e64 v5, v11, v10, s[2:3]
	v_lshl_add_u64 v[10:11], v[8:9], 0, 2
	v_cmp_ne_u32_e64 s[2:3], 0, v5
	s_nop 1
	v_cndmask_b32_e64 v5, v13, v11, s[2:3]
	v_cndmask_b32_e64 v11, 0, -1, vcc
	v_cmp_le_u32_e32 vcc, s24, v14
	s_nop 1
	v_cndmask_b32_e64 v13, 0, -1, vcc
	v_cmp_eq_u32_e32 vcc, s25, v1
	s_nop 1
	v_cndmask_b32_e32 v1, v11, v13, vcc
	v_cmp_ne_u32_e32 vcc, 0, v1
	v_cndmask_b32_e64 v1, v12, v10, s[2:3]
	s_nop 0
	v_cndmask_b32_e32 v205, v9, v5, vcc
	v_cndmask_b32_e32 v204, v8, v1, vcc
.LBB0_4:                                ;   in Loop: Header=BB0_2 Depth=1
	s_andn2_saveexec_b64 s[2:3], s[26:27]
	s_cbranch_execz .LBB0_6
; %bb.5:                                ;   in Loop: Header=BB0_2 Depth=1
	v_cvt_f32_u32_e32 v1, s24
	s_sub_i32 s26, 0, s24
	v_mov_b32_e32 v205, v4
	v_rcp_iflag_f32_e32 v1, v1
	s_nop 0
	v_mul_f32_e32 v1, 0x4f7ffffe, v1
	v_cvt_u32_f32_e32 v1, v1
	v_mul_lo_u32 v5, s26, v1
	v_mul_hi_u32 v5, v1, v5
	v_add_u32_e32 v1, v1, v5
	v_mul_hi_u32 v1, v6, v1
	v_mul_lo_u32 v5, v1, s24
	v_sub_u32_e32 v5, v6, v5
	v_add_u32_e32 v8, 1, v1
	v_subrev_u32_e32 v9, s24, v5
	v_cmp_le_u32_e32 vcc, s24, v5
	s_nop 1
	v_cndmask_b32_e32 v5, v5, v9, vcc
	v_cndmask_b32_e32 v1, v1, v8, vcc
	v_add_u32_e32 v8, 1, v1
	v_cmp_le_u32_e32 vcc, s24, v5
	s_nop 1
	v_cndmask_b32_e32 v204, v1, v8, vcc
.LBB0_6:                                ;   in Loop: Header=BB0_2 Depth=1
	s_or_b64 exec, exec, s[2:3]
	v_mad_u64_u32 v[8:9], s[2:3], v204, s24, 0
	s_load_dwordx2 s[2:3], s[18:19], 0x0
	v_mul_lo_u32 v1, v205, s24
	v_mul_lo_u32 v5, v204, s25
	s_load_dwordx2 s[24:25], s[16:17], 0x0
	s_add_u32 s22, s22, 1
	v_add3_u32 v1, v9, v5, v1
	v_sub_co_u32_e32 v5, vcc, v6, v8
	s_addc_u32 s23, s23, 0
	s_nop 0
	v_subb_co_u32_e32 v1, vcc, v7, v1, vcc
	s_add_u32 s16, s16, 8
	s_waitcnt lgkmcnt(0)
	v_mul_lo_u32 v6, s2, v1
	v_mul_lo_u32 v7, s3, v5
	v_mad_u64_u32 v[2:3], s[2:3], s2, v5, v[2:3]
	s_addc_u32 s17, s17, 0
	v_add3_u32 v3, v7, v3, v6
	v_mul_lo_u32 v1, s24, v1
	v_mul_lo_u32 v6, s25, v5
	v_mad_u64_u32 v[200:201], s[2:3], s24, v5, v[200:201]
	s_add_u32 s18, s18, 8
	v_add3_u32 v201, v6, v201, v1
	s_addc_u32 s19, s19, 0
	v_mov_b64_e32 v[6:7], s[10:11]
	s_add_u32 s20, s20, 8
	v_cmp_ge_u64_e32 vcc, s[22:23], v[6:7]
	s_addc_u32 s21, s21, 0
	s_cbranch_vccnz .LBB0_9
; %bb.7:                                ;   in Loop: Header=BB0_2 Depth=1
	v_mov_b64_e32 v[6:7], v[204:205]
	s_branch .LBB0_2
.LBB0_8:
	v_mov_b64_e32 v[200:201], v[2:3]
	v_mov_b64_e32 v[204:205], v[6:7]
.LBB0_9:
	s_load_dwordx2 s[18:19], s[0:1], 0x28
	s_lshl_b64 s[16:17], s[10:11], 3
	s_add_u32 s2, s14, s16
	s_addc_u32 s3, s15, s17
                                        ; implicit-def: $vgpr202
                                        ; implicit-def: $vgpr206
                                        ; implicit-def: $vgpr218
                                        ; implicit-def: $vgpr216
                                        ; implicit-def: $vgpr214
                                        ; implicit-def: $vgpr212
                                        ; implicit-def: $vgpr128
                                        ; implicit-def: $agpr0
	s_waitcnt lgkmcnt(0)
	v_cmp_gt_u64_e64 s[0:1], s[18:19], v[204:205]
	v_cmp_le_u64_e32 vcc, s[18:19], v[204:205]
	s_and_saveexec_b64 s[10:11], vcc
	s_xor_b64 s[10:11], exec, s[10:11]
	s_cbranch_execz .LBB0_11
; %bb.10:
	s_mov_b32 s14, 0x20c49bb
	v_mul_hi_u32 v1, v0, s14
	v_mul_u32_u24_e32 v1, 0x7d, v1
	v_sub_u32_e32 v202, v0, v1
	v_add_u32_e32 v0, 0x465, v202
	v_add_u32_e32 v206, 0x7d, v202
	;; [unrolled: 1-line block ×7, first 2 shown]
	v_accvgpr_write_b32 a0, v0
                                        ; implicit-def: $vgpr0
                                        ; implicit-def: $vgpr2_vgpr3
.LBB0_11:
	s_andn2_saveexec_b64 s[10:11], s[10:11]
	s_cbranch_execz .LBB0_13
; %bb.12:
	s_add_u32 s12, s12, s16
	s_addc_u32 s13, s13, s17
	s_load_dwordx2 s[12:13], s[12:13], 0x0
	s_mov_b32 s14, 0x20c49bb
	v_mov_b32_e32 v121, 0
	s_movk_i32 s15, 0x7000
	s_waitcnt lgkmcnt(0)
	v_mul_lo_u32 v1, s13, v204
	v_mul_lo_u32 v6, s12, v205
	v_mad_u64_u32 v[4:5], s[12:13], s12, v204, 0
	v_add3_u32 v5, v5, v6, v1
	v_mul_hi_u32 v1, v0, s14
	v_mul_u32_u24_e32 v1, 0x7d, v1
	v_sub_u32_e32 v202, v0, v1
	v_lshl_add_u64 v[0:1], v[4:5], 4, s[4:5]
	v_lshl_add_u64 v[0:1], v[2:3], 4, v[0:1]
	v_lshlrev_b32_e32 v120, 4, v202
	v_lshl_add_u64 v[112:113], v[0:1], 0, v[120:121]
	s_movk_i32 s4, 0x1000
	v_add_co_u32_e32 v64, vcc, s4, v112
	s_movk_i32 s4, 0x2000
	s_nop 0
	v_addc_co_u32_e32 v65, vcc, 0, v113, vcc
	v_add_co_u32_e32 v66, vcc, s4, v112
	s_movk_i32 s5, 0x3000
	s_nop 0
	v_addc_co_u32_e32 v67, vcc, 0, v113, vcc
	;; [unrolled: 4-line block ×5, first 2 shown]
	v_add_co_u32_e32 v74, vcc, s14, v112
	s_mov_b32 s4, 0x8000
	s_nop 0
	v_addc_co_u32_e32 v75, vcc, 0, v113, vcc
	v_add_co_u32_e32 v76, vcc, s15, v112
	s_mov_b32 s5, 0x9000
	s_nop 0
	v_addc_co_u32_e32 v77, vcc, 0, v113, vcc
	;; [unrolled: 4-line block ×3, first 2 shown]
	v_add_co_u32_e32 v88, vcc, s5, v112
	global_load_dwordx4 v[0:3], v[112:113], off
	global_load_dwordx4 v[4:7], v[112:113], off offset:2000
	v_addc_co_u32_e32 v89, vcc, 0, v113, vcc
	v_add_co_u32_e32 v96, vcc, s4, v112
	s_mov_b32 s4, 0xb000
	s_nop 0
	v_addc_co_u32_e32 v97, vcc, 0, v113, vcc
	v_add_co_u32_e32 v104, vcc, s4, v112
	s_mov_b32 s4, 0xc000
	s_nop 0
	v_addc_co_u32_e32 v105, vcc, 0, v113, vcc
	v_add_co_u32_e32 v114, vcc, s4, v112
	global_load_dwordx4 v[8:11], v[112:113], off offset:4000
	global_load_dwordx4 v[12:15], v[64:65], off offset:1904
	v_addc_co_u32_e32 v115, vcc, 0, v113, vcc
	v_add_co_u32_e32 v116, vcc, 0xd000, v112
	global_load_dwordx4 v[16:19], v[64:65], off offset:3904
	global_load_dwordx4 v[20:23], v[66:67], off offset:1808
	;; [unrolled: 1-line block ×12, first 2 shown]
	v_addc_co_u32_e32 v117, vcc, 0, v113, vcc
	v_add_co_u32_e32 v118, vcc, 0xe000, v112
	global_load_dwordx4 v[64:67], v[76:77], off offset:3328
	global_load_dwordx4 v[68:71], v[80:81], off offset:1232
	v_addc_co_u32_e32 v119, vcc, 0, v113, vcc
	global_load_dwordx4 v[72:75], v[80:81], off offset:3232
	global_load_dwordx4 v[76:79], v[88:89], off offset:1136
	s_nop 0
	global_load_dwordx4 v[80:83], v[88:89], off offset:3136
	global_load_dwordx4 v[84:87], v[96:97], off offset:1040
	s_nop 0
	;; [unrolled: 3-line block ×5, first 2 shown]
	global_load_dwordx4 v[112:115], v[116:117], off offset:2752
	s_nop 0
	global_load_dwordx4 v[116:119], v[118:119], off offset:656
	v_add_u32_e32 v120, 0, v120
	v_add_u32_e32 v206, 0x7d, v202
	;; [unrolled: 1-line block ×7, first 2 shown]
	s_waitcnt vmcnt(29)
	ds_write_b128 v120, v[0:3]
	s_waitcnt vmcnt(28)
	ds_write_b128 v120, v[4:7] offset:2000
	s_waitcnt vmcnt(27)
	ds_write_b128 v120, v[8:11] offset:4000
	;; [unrolled: 2-line block ×16, first 2 shown]
	v_add_u32_e32 v0, 0x465, v202
	v_accvgpr_write_b32 a0, v0
	s_waitcnt vmcnt(12)
	ds_write_b128 v120, v[68:71] offset:34000
	s_waitcnt vmcnt(11)
	ds_write_b128 v120, v[72:75] offset:36000
	;; [unrolled: 2-line block ×13, first 2 shown]
.LBB0_13:
	s_or_b64 exec, exec, s[10:11]
	v_lshlrev_b32_e32 v0, 4, v202
	v_add_u32_e32 v238, 0, v0
	s_load_dwordx2 s[2:3], s[2:3], 0x0
	s_waitcnt lgkmcnt(0)
	s_barrier
	v_accvgpr_write_b32 a1, v0
	ds_read_b128 v[32:35], v238
	ds_read_b128 v[104:107], v238 offset:20000
	ds_read_b128 v[108:111], v238 offset:40000
	;; [unrolled: 1-line block ×29, first 2 shown]
	s_waitcnt lgkmcnt(14)
	v_add_f64 v[80:81], v[32:33], v[104:105]
	v_add_f64 v[88:89], v[80:81], v[108:109]
	v_add_f64 v[80:81], v[104:105], v[108:109]
	s_mov_b32 s4, 0xe8584caa
	v_fmac_f64_e32 v[32:33], -0.5, v[80:81]
	v_add_f64 v[82:83], v[106:107], -v[110:111]
	s_mov_b32 s5, 0xbfebb67a
	s_mov_b32 s11, 0x3febb67a
	;; [unrolled: 1-line block ×3, first 2 shown]
	v_fma_f64 v[80:81], s[4:5], v[82:83], v[32:33]
	v_fmac_f64_e32 v[32:33], s[10:11], v[82:83]
	v_add_f64 v[82:83], v[34:35], v[106:107]
	v_add_f64 v[90:91], v[82:83], v[110:111]
	v_add_f64 v[82:83], v[106:107], v[110:111]
	v_fmac_f64_e32 v[34:35], -0.5, v[82:83]
	v_add_f64 v[104:105], v[104:105], -v[108:109]
	v_fma_f64 v[82:83], s[10:11], v[104:105], v[34:35]
	v_fmac_f64_e32 v[34:35], s[4:5], v[104:105]
	v_add_f64 v[104:105], v[28:29], v[112:113]
	v_add_f64 v[108:109], v[104:105], v[116:117]
	v_add_f64 v[104:105], v[112:113], v[116:117]
	v_fmac_f64_e32 v[28:29], -0.5, v[104:105]
	v_add_f64 v[106:107], v[114:115], -v[118:119]
	;; [unrolled: 7-line block ×6, first 2 shown]
	v_fma_f64 v[120:121], s[4:5], v[122:123], v[20:21]
	v_fmac_f64_e32 v[20:21], s[10:11], v[122:123]
	v_add_f64 v[122:123], v[22:23], v[98:99]
	v_add_f64 v[98:99], v[98:99], v[102:103]
	v_fmac_f64_e32 v[22:23], -0.5, v[98:99]
	v_add_f64 v[96:97], v[96:97], -v[100:101]
	v_add_f64 v[126:127], v[122:123], v[102:103]
	v_fma_f64 v[122:123], s[10:11], v[96:97], v[22:23]
	v_fmac_f64_e32 v[22:23], s[4:5], v[96:97]
	v_add_f64 v[96:97], v[16:17], v[72:73]
	v_add_f64 v[100:101], v[96:97], v[76:77]
	;; [unrolled: 1-line block ×3, first 2 shown]
	v_fmac_f64_e32 v[16:17], -0.5, v[96:97]
	v_add_f64 v[98:99], v[74:75], -v[78:79]
	v_fma_f64 v[96:97], s[4:5], v[98:99], v[16:17]
	v_fmac_f64_e32 v[16:17], s[10:11], v[98:99]
	v_add_f64 v[98:99], v[18:19], v[74:75]
	v_add_f64 v[74:75], v[74:75], v[78:79]
	v_fmac_f64_e32 v[18:19], -0.5, v[74:75]
	v_add_f64 v[72:73], v[72:73], -v[76:77]
	v_add_f64 v[102:103], v[98:99], v[78:79]
	v_fma_f64 v[98:99], s[10:11], v[72:73], v[18:19]
	v_fmac_f64_e32 v[18:19], s[4:5], v[72:73]
	s_waitcnt lgkmcnt(12)
	v_add_f64 v[72:73], v[12:13], v[64:65]
	s_waitcnt lgkmcnt(10)
	v_add_f64 v[76:77], v[72:73], v[68:69]
	v_add_f64 v[72:73], v[64:65], v[68:69]
	v_fmac_f64_e32 v[12:13], -0.5, v[72:73]
	v_add_f64 v[74:75], v[66:67], -v[70:71]
	v_fma_f64 v[72:73], s[4:5], v[74:75], v[12:13]
	v_fmac_f64_e32 v[12:13], s[10:11], v[74:75]
	v_add_f64 v[74:75], v[14:15], v[66:67]
	v_add_f64 v[66:67], v[66:67], v[70:71]
	v_fmac_f64_e32 v[14:15], -0.5, v[66:67]
	v_add_f64 v[64:65], v[64:65], -v[68:69]
	v_add_f64 v[78:79], v[74:75], v[70:71]
	v_fma_f64 v[74:75], s[10:11], v[64:65], v[14:15]
	v_fmac_f64_e32 v[14:15], s[4:5], v[64:65]
	v_add_f64 v[64:65], v[8:9], v[56:57]
	s_waitcnt lgkmcnt(9)
	v_add_f64 v[68:69], v[64:65], v[60:61]
	v_add_f64 v[64:65], v[56:57], v[60:61]
	v_fmac_f64_e32 v[8:9], -0.5, v[64:65]
	v_add_f64 v[66:67], v[58:59], -v[62:63]
	v_fma_f64 v[64:65], s[4:5], v[66:67], v[8:9]
	v_fmac_f64_e32 v[8:9], s[10:11], v[66:67]
	v_add_f64 v[66:67], v[10:11], v[58:59]
	v_add_f64 v[58:59], v[58:59], v[62:63]
	v_fmac_f64_e32 v[10:11], -0.5, v[58:59]
	v_add_f64 v[56:57], v[56:57], -v[60:61]
	v_add_f64 v[70:71], v[66:67], v[62:63]
	v_fma_f64 v[66:67], s[10:11], v[56:57], v[10:11]
	v_fmac_f64_e32 v[10:11], s[4:5], v[56:57]
	s_waitcnt lgkmcnt(6)
	v_add_f64 v[56:57], v[4:5], v[48:49]
	s_waitcnt lgkmcnt(4)
	v_add_f64 v[60:61], v[56:57], v[52:53]
	v_add_f64 v[56:57], v[48:49], v[52:53]
	v_fmac_f64_e32 v[4:5], -0.5, v[56:57]
	v_add_f64 v[58:59], v[50:51], -v[54:55]
	v_fma_f64 v[56:57], s[4:5], v[58:59], v[4:5]
	v_fmac_f64_e32 v[4:5], s[10:11], v[58:59]
	v_add_f64 v[58:59], v[6:7], v[50:51]
	v_add_f64 v[50:51], v[50:51], v[54:55]
	v_fmac_f64_e32 v[6:7], -0.5, v[50:51]
	v_add_f64 v[48:49], v[48:49], -v[52:53]
	v_add_f64 v[62:63], v[58:59], v[54:55]
	v_fma_f64 v[58:59], s[10:11], v[48:49], v[6:7]
	v_fmac_f64_e32 v[6:7], s[4:5], v[48:49]
	v_add_f64 v[48:49], v[0:1], v[40:41]
	s_waitcnt lgkmcnt(3)
	v_add_f64 v[52:53], v[48:49], v[44:45]
	v_add_f64 v[48:49], v[40:41], v[44:45]
	v_fmac_f64_e32 v[0:1], -0.5, v[48:49]
	v_add_f64 v[50:51], v[42:43], -v[46:47]
	v_fma_f64 v[48:49], s[4:5], v[50:51], v[0:1]
	v_fmac_f64_e32 v[0:1], s[10:11], v[50:51]
	v_add_f64 v[50:51], v[2:3], v[42:43]
	v_add_f64 v[42:43], v[42:43], v[46:47]
	v_fmac_f64_e32 v[2:3], -0.5, v[42:43]
	v_add_f64 v[40:41], v[40:41], -v[44:45]
	s_waitcnt lgkmcnt(0)
	v_add_f64 v[42:43], v[84:85], v[92:93]
	v_add_f64 v[54:55], v[50:51], v[46:47]
	v_fma_f64 v[50:51], s[10:11], v[40:41], v[2:3]
	v_fmac_f64_e32 v[2:3], s[4:5], v[40:41]
	v_add_f64 v[40:41], v[36:37], v[84:85]
	v_fmac_f64_e32 v[36:37], -0.5, v[42:43]
	v_add_f64 v[42:43], v[86:87], -v[94:95]
	v_add_f64 v[46:47], v[86:87], v[94:95]
	v_fma_f64 v[44:45], s[4:5], v[42:43], v[36:37]
	v_fmac_f64_e32 v[36:37], s[10:11], v[42:43]
	v_add_f64 v[42:43], v[38:39], v[86:87]
	v_fmac_f64_e32 v[38:39], -0.5, v[46:47]
	v_add_f64 v[84:85], v[84:85], -v[92:93]
	v_fma_f64 v[46:47], s[10:11], v[84:85], v[38:39]
	v_fmac_f64_e32 v[38:39], s[4:5], v[84:85]
	v_mad_u32_u24 v84, v202, 48, 0
	s_barrier
	ds_write_b128 v84, v[88:91]
	ds_write_b128 v84, v[80:83] offset:16
	ds_write_b128 v84, v[32:35] offset:32
	v_mad_i32_i24 v32, v206, 48, 0
	ds_write_b128 v32, v[108:111]
	ds_write_b128 v32, v[104:107] offset:16
	ds_write_b128 v32, v[28:31] offset:32
	v_mad_i32_i24 v28, v218, 48, 0
	;; [unrolled: 4-line block ×6, first 2 shown]
	ds_write_b128 v12, v[68:71]
	ds_write_b128 v12, v[64:67] offset:16
	ds_write_b128 v12, v[8:11] offset:32
	;; [unrolled: 1-line block ×8, first 2 shown]
	v_accvgpr_read_b32 v2, a0
	v_add_f64 v[40:41], v[40:41], v[92:93]
	v_add_f64 v[42:43], v[42:43], v[94:95]
	v_mad_i32_i24 v0, v2, 48, 0
	s_movk_i32 s4, 0xab
	ds_write_b128 v0, v[40:43]
	ds_write_b128 v0, v[44:47] offset:16
	ds_write_b128 v0, v[36:39] offset:32
	v_mul_lo_u16_sdwa v0, v202, s4 dst_sel:DWORD dst_unused:UNUSED_PAD src0_sel:BYTE_0 src1_sel:DWORD
	v_lshrrev_b16_e32 v197, 9, v0
	v_mul_lo_u16_e32 v0, 3, v197
	v_sub_u16_e32 v198, v202, v0
	v_mov_b32_e32 v186, 6
	v_lshlrev_b32_sdwa v0, v186, v198 dst_sel:DWORD dst_unused:UNUSED_PAD src0_sel:DWORD src1_sel:BYTE_0
	s_waitcnt lgkmcnt(0)
	s_barrier
	global_load_dwordx4 v[88:91], v0, s[8:9]
	global_load_dwordx4 v[20:23], v0, s[8:9] offset:16
	v_lshl_add_u32 v213, v206, 4, 0
	v_lshl_add_u32 v239, v218, 4, 0
	ds_read_b128 v[16:19], v213
	ds_read_b128 v[4:7], v239
	ds_read_b128 v[48:51], v238 offset:14000
	ds_read_b128 v[32:35], v238 offset:16000
	global_load_dwordx4 v[56:59], v0, s[8:9] offset:48
	global_load_dwordx4 v[60:63], v0, s[8:9] offset:32
	v_mul_lo_u16_sdwa v0, v206, s4 dst_sel:DWORD dst_unused:UNUSED_PAD src0_sel:BYTE_0 src1_sel:DWORD
	v_lshrrev_b16_e32 v187, 9, v0
	v_mul_lo_u16_e32 v0, 3, v187
	v_lshlrev_b32_e32 v1, 5, v128
	v_sub_u16_e32 v199, v206, v0
	v_accvgpr_write_b32 a3, v12
	v_sub_u32_e32 v219, v12, v1
	v_lshlrev_b32_sdwa v12, v186, v199 dst_sel:DWORD dst_unused:UNUSED_PAD src0_sel:DWORD src1_sel:BYTE_0
	v_lshl_add_u32 v241, v216, 4, 0
	s_mov_b32 s4, 0xaaab
	v_accvgpr_write_b32 a5, v1
	ds_read_b128 v[52:55], v238 offset:26000
	ds_read_b128 v[36:39], v238 offset:28000
	;; [unrolled: 1-line block ×6, first 2 shown]
	global_load_dwordx4 v[72:75], v12, s[8:9] offset:16
	global_load_dwordx4 v[84:87], v12, s[8:9]
	v_lshl_add_u32 v240, v214, 4, 0
	ds_read_b128 v[8:11], v241
	ds_read_b128 v[0:3], v240
	ds_read_b128 v[68:71], v238 offset:18000
	ds_read_b128 v[64:67], v238 offset:20000
	global_load_dwordx4 v[76:79], v12, s[8:9] offset:48
	global_load_dwordx4 v[80:83], v12, s[8:9] offset:32
	v_mul_u32_u24_sdwa v12, v218, s4 dst_sel:DWORD dst_unused:UNUSED_PAD src0_sel:WORD_0 src1_sel:DWORD
	v_lshrrev_b32_e32 v236, 17, v12
	v_mul_lo_u16_e32 v12, 3, v236
	v_sub_u16_e32 v237, v218, v12
	v_lshlrev_b32_e32 v12, 6, v237
	v_accvgpr_write_b32 a2, v128
	global_load_dwordx4 v[116:119], v12, s[8:9] offset:16
	global_load_dwordx4 v[136:139], v12, s[8:9]
	ds_read_b128 v[124:127], v238 offset:30000
	ds_read_b128 v[104:107], v238 offset:32000
	;; [unrolled: 1-line block ×6, first 2 shown]
	global_load_dwordx4 v[128:131], v12, s[8:9] offset:48
	global_load_dwordx4 v[132:135], v12, s[8:9] offset:32
	v_mul_u32_u24_sdwa v12, v216, s4 dst_sel:DWORD dst_unused:UNUSED_PAD src0_sel:WORD_0 src1_sel:DWORD
	v_lshrrev_b32_e32 v207, 17, v12
	v_mul_lo_u16_e32 v12, 3, v207
	v_sub_u16_e32 v192, v216, v12
	v_lshlrev_b32_e32 v13, 5, v212
	v_lshlrev_b32_e32 v96, 6, v192
	global_load_dwordx4 v[144:147], v96, s[8:9] offset:16
	global_load_dwordx4 v[156:159], v96, s[8:9]
	v_accvgpr_write_b32 a6, v13
	v_sub_u32_e32 v217, v97, v13
	ds_read_b128 v[162:165], v219
	ds_read_b128 v[12:15], v217
	ds_read_b128 v[166:169], v238 offset:24000
	ds_read_b128 v[108:111], v238 offset:22000
	v_mul_u32_u24_sdwa v140, v214, s4 dst_sel:DWORD dst_unused:UNUSED_PAD src0_sel:WORD_0 src1_sel:DWORD
	v_lshrrev_b32_e32 v195, 17, v140
	v_mul_lo_u16_e32 v140, 3, v195
	v_sub_u16_e32 v196, v214, v140
	v_lshlrev_b32_e32 v178, 6, v196
	v_accvgpr_write_b32 a4, v97
	global_load_dwordx4 v[148:151], v96, s[8:9] offset:48
	global_load_dwordx4 v[152:155], v96, s[8:9] offset:32
	ds_read_b128 v[170:173], v238 offset:36000
	ds_read_b128 v[96:99], v238 offset:34000
	global_load_dwordx4 v[220:223], v178, s[8:9] offset:16
	global_load_dwordx4 v[224:227], v178, s[8:9]
	ds_read_b128 v[174:177], v238 offset:48000
	ds_read_b128 v[140:143], v238 offset:46000
	global_load_dwordx4 v[228:231], v178, s[8:9] offset:48
	global_load_dwordx4 v[232:235], v178, s[8:9] offset:32
	s_mov_b32 s12, 0x134454ff
	s_mov_b32 s13, 0xbfee6f0e
	;; [unrolled: 1-line block ×7, first 2 shown]
	s_movk_i32 s18, 0x89
	s_mov_b32 s22, 0x9b97f4a8
	s_mov_b32 s23, 0x3fe9e377
	;; [unrolled: 1-line block ×5, first 2 shown]
	s_waitcnt vmcnt(19) lgkmcnt(7)
	v_mul_f64 v[160:161], v[164:165], v[90:91]
	v_fmac_f64_e32 v[160:161], v[162:163], v[88:89]
	v_mul_f64 v[90:91], v[162:163], v[90:91]
	v_mul_u32_u24_sdwa v162, v212, s4 dst_sel:DWORD dst_unused:UNUSED_PAD src0_sel:WORD_0 src1_sel:DWORD
	v_lshrrev_b32_e32 v193, 17, v162
	v_mul_lo_u16_e32 v162, 3, v193
	v_sub_u16_e32 v194, v212, v162
	v_lshlrev_b32_e32 v162, 6, v194
	global_load_dwordx4 v[242:245], v162, s[8:9] offset:16
	global_load_dwordx4 v[246:249], v162, s[8:9]
	global_load_dwordx4 v[250:253], v162, s[8:9] offset:48
	global_load_dwordx4 v[208:211], v162, s[8:9] offset:32
	v_fma_f64 v[88:89], v[164:165], v[88:89], -v[90:91]
	s_waitcnt vmcnt(22) lgkmcnt(5)
	v_mul_f64 v[90:91], v[168:169], v[22:23]
	v_mul_f64 v[22:23], v[166:167], v[22:23]
	v_fmac_f64_e32 v[90:91], v[166:167], v[20:21]
	v_fma_f64 v[178:179], v[168:169], v[20:21], -v[22:23]
	s_waitcnt vmcnt(20) lgkmcnt(3)
	v_mul_f64 v[184:185], v[172:173], v[62:63]
	v_mul_f64 v[20:21], v[170:171], v[62:63]
	s_waitcnt lgkmcnt(1)
	v_mul_f64 v[62:63], v[176:177], v[58:59]
	v_fmac_f64_e32 v[62:63], v[174:175], v[56:57]
	v_mul_f64 v[58:59], v[174:175], v[58:59]
	v_fmac_f64_e32 v[184:185], v[170:171], v[60:61]
	s_waitcnt vmcnt(16)
	v_mul_f64 v[174:175], v[46:47], v[82:83]
	v_mul_f64 v[170:171], v[50:51], v[86:87]
	v_fmac_f64_e32 v[174:175], v[44:45], v[80:81]
	v_mul_f64 v[44:45], v[44:45], v[82:83]
	v_fmac_f64_e32 v[170:171], v[48:49], v[84:85]
	v_mul_f64 v[48:49], v[48:49], v[86:87]
	v_fma_f64 v[166:167], v[46:47], v[80:81], -v[44:45]
	s_waitcnt vmcnt(14)
	v_mul_f64 v[80:81], v[34:35], v[138:139]
	v_fma_f64 v[180:181], v[172:173], v[60:61], -v[20:21]
	ds_read_b128 v[20:23], v238
	ds_read_b128 v[188:191], v238 offset:58000
	v_fma_f64 v[162:163], v[50:51], v[84:85], -v[48:49]
	v_mul_f64 v[48:49], v[52:53], v[74:75]
	v_fmac_f64_e32 v[80:81], v[32:33], v[136:137]
	v_mul_f64 v[32:33], v[32:33], v[138:139]
	v_fma_f64 v[164:165], v[54:55], v[72:73], -v[48:49]
	v_fma_f64 v[48:49], v[34:35], v[136:137], -v[32:33]
	s_waitcnt vmcnt(12)
	v_mul_f64 v[136:137], v[30:31], v[134:135]
	v_mul_f64 v[172:173], v[54:55], v[74:75]
	v_fmac_f64_e32 v[136:137], v[28:29], v[132:133]
	v_mul_f64 v[28:29], v[28:29], v[134:135]
	v_mul_f64 v[138:139], v[26:27], v[130:131]
	v_fma_f64 v[182:183], v[176:177], v[56:57], -v[58:59]
	v_fmac_f64_e32 v[172:173], v[52:53], v[72:73]
	v_mul_f64 v[176:177], v[42:43], v[78:79]
	v_fma_f64 v[72:73], v[30:31], v[132:133], -v[28:29]
	v_fmac_f64_e32 v[138:139], v[24:25], v[128:129]
	s_waitcnt vmcnt(8)
	v_mul_f64 v[74:75], v[122:123], v[154:155]
	v_mul_f64 v[24:25], v[24:25], v[130:131]
	v_fmac_f64_e32 v[74:75], v[120:121], v[152:153]
	v_mul_f64 v[28:29], v[120:121], v[154:155]
	v_fmac_f64_e32 v[176:177], v[40:41], v[76:77]
	v_mul_f64 v[40:41], v[40:41], v[78:79]
	v_fma_f64 v[78:79], v[26:27], v[128:129], -v[24:25]
	v_mul_f64 v[26:27], v[124:125], v[146:147]
	v_fma_f64 v[52:53], v[122:123], v[152:153], -v[28:29]
	;; [unrolled: 2-line block ×3, first 2 shown]
	v_mul_f64 v[82:83], v[38:39], v[118:119]
	v_mul_f64 v[32:33], v[36:37], v[118:119]
	v_fmac_f64_e32 v[82:83], v[36:37], v[116:117]
	v_fma_f64 v[50:51], v[38:39], v[116:117], -v[32:33]
	v_mul_f64 v[28:29], v[112:113], v[150:151]
	v_mul_f64 v[56:57], v[70:71], v[158:159]
	v_fma_f64 v[54:55], v[114:115], v[148:149], -v[28:29]
	s_waitcnt vmcnt(6)
	v_mul_f64 v[36:37], v[66:67], v[226:227]
	v_mul_f64 v[28:29], v[64:65], v[226:227]
	v_add_f64 v[46:47], v[88:89], -v[182:183]
	s_mov_b32 s4, 0x4755a5e
	v_fmac_f64_e32 v[56:57], v[68:69], v[156:157]
	v_mul_f64 v[24:25], v[68:69], v[158:159]
	v_fmac_f64_e32 v[36:37], v[64:65], v[224:225]
	v_fma_f64 v[28:29], v[66:67], v[224:225], -v[28:29]
	v_add_f64 v[66:67], v[178:179], -v[180:181]
	s_mov_b32 s5, 0xbfe2cf23
	v_add_f64 v[60:61], v[160:161], -v[90:91]
	v_add_f64 v[68:69], v[62:63], -v[184:185]
	s_mov_b32 s16, s4
	v_add_f64 v[60:61], v[60:61], v[68:69]
	v_fma_f64 v[24:25], v[70:71], v[156:157], -v[24:25]
	v_add_f64 v[68:69], v[90:91], -v[160:161]
	v_add_f64 v[70:71], v[184:185], -v[62:63]
	v_add_f64 v[68:69], v[68:69], v[70:71]
	v_add_f64 v[70:71], v[90:91], -v[184:185]
	v_add_f64 v[84:85], v[182:183], -v[180:181]
	v_fma_f64 v[168:169], v[42:43], v[76:77], -v[40:41]
	v_mul_f64 v[76:77], v[114:115], v[150:151]
	v_add_f64 v[86:87], v[180:181], -v[182:183]
	s_waitcnt vmcnt(2)
	v_mul_f64 v[44:45], v[108:109], v[248:249]
	v_fma_f64 v[120:121], v[110:111], v[246:247], -v[44:45]
	v_mul_f64 v[44:45], v[96:97], v[244:245]
	v_fma_f64 v[122:123], v[98:99], v[242:243], -v[44:45]
	s_waitcnt vmcnt(0) lgkmcnt(2)
	v_mul_f64 v[44:45], v[140:141], v[210:211]
	v_fma_f64 v[126:127], v[142:143], v[208:209], -v[44:45]
	s_waitcnt lgkmcnt(0)
	v_mul_f64 v[44:45], v[188:189], v[252:253]
	v_fma_f64 v[130:131], v[190:191], v[250:251], -v[44:45]
	v_add_f64 v[44:45], v[20:21], v[160:161]
	v_add_f64 v[44:45], v[44:45], v[90:91]
	v_add_f64 v[44:45], v[44:45], v[184:185]
	v_add_f64 v[116:117], v[44:45], v[62:63]
	v_add_f64 v[44:45], v[90:91], v[184:185]
	v_fma_f64 v[44:45], -0.5, v[44:45], v[20:21]
	v_fma_f64 v[64:65], s[12:13], v[46:47], v[44:45]
	v_fmac_f64_e32 v[44:45], s[14:15], v[46:47]
	v_fmac_f64_e32 v[64:65], s[4:5], v[66:67]
	;; [unrolled: 1-line block ×5, first 2 shown]
	v_add_f64 v[60:61], v[160:161], v[62:63]
	v_fmac_f64_e32 v[20:21], -0.5, v[60:61]
	v_fma_f64 v[60:61], s[14:15], v[66:67], v[20:21]
	v_fmac_f64_e32 v[20:21], s[12:13], v[66:67]
	v_fmac_f64_e32 v[60:61], s[4:5], v[46:47]
	;; [unrolled: 1-line block ×3, first 2 shown]
	v_add_f64 v[46:47], v[22:23], v[88:89]
	v_add_f64 v[46:47], v[46:47], v[178:179]
	v_add_f64 v[46:47], v[46:47], v[180:181]
	v_add_f64 v[118:119], v[46:47], v[182:183]
	v_add_f64 v[46:47], v[178:179], v[180:181]
	v_fmac_f64_e32 v[60:61], s[10:11], v[68:69]
	v_fmac_f64_e32 v[20:21], s[10:11], v[68:69]
	v_fma_f64 v[46:47], -0.5, v[46:47], v[22:23]
	v_add_f64 v[68:69], v[160:161], -v[62:63]
	v_fma_f64 v[66:67], s[14:15], v[68:69], v[46:47]
	v_add_f64 v[62:63], v[88:89], -v[178:179]
	v_fmac_f64_e32 v[46:47], s[12:13], v[68:69]
	v_fmac_f64_e32 v[66:67], s[16:17], v[70:71]
	v_add_f64 v[62:63], v[62:63], v[84:85]
	v_fmac_f64_e32 v[46:47], s[4:5], v[70:71]
	v_fmac_f64_e32 v[66:67], s[10:11], v[62:63]
	;; [unrolled: 1-line block ×3, first 2 shown]
	v_add_f64 v[62:63], v[88:89], v[182:183]
	v_fmac_f64_e32 v[22:23], -0.5, v[62:63]
	v_fma_f64 v[62:63], s[12:13], v[70:71], v[22:23]
	v_fmac_f64_e32 v[22:23], s[14:15], v[70:71]
	v_fmac_f64_e32 v[62:63], s[16:17], v[68:69]
	;; [unrolled: 1-line block ×3, first 2 shown]
	v_add_f64 v[68:69], v[16:17], v[170:171]
	v_add_f64 v[68:69], v[68:69], v[172:173]
	v_add_f64 v[84:85], v[178:179], -v[88:89]
	v_add_f64 v[68:69], v[68:69], v[174:175]
	v_fmac_f64_e32 v[76:77], v[112:113], v[148:149]
	v_add_f64 v[84:85], v[84:85], v[86:87]
	v_add_f64 v[112:113], v[68:69], v[176:177]
	;; [unrolled: 1-line block ×3, first 2 shown]
	v_fmac_f64_e32 v[58:59], v[124:125], v[144:145]
	v_mul_f64 v[124:125], v[110:111], v[248:249]
	v_fmac_f64_e32 v[62:63], s[10:11], v[84:85]
	v_fmac_f64_e32 v[22:23], s[10:11], v[84:85]
	v_fma_f64 v[84:85], -0.5, v[68:69], v[16:17]
	v_add_f64 v[68:69], v[162:163], -v[168:169]
	v_fmac_f64_e32 v[124:125], v[108:109], v[246:247]
	v_fma_f64 v[108:109], s[12:13], v[68:69], v[84:85]
	v_add_f64 v[70:71], v[164:165], -v[166:167]
	v_add_f64 v[86:87], v[170:171], -v[172:173]
	;; [unrolled: 1-line block ×3, first 2 shown]
	v_fmac_f64_e32 v[84:85], s[14:15], v[68:69]
	v_fmac_f64_e32 v[108:109], s[4:5], v[70:71]
	v_add_f64 v[86:87], v[86:87], v[88:89]
	v_fmac_f64_e32 v[84:85], s[16:17], v[70:71]
	v_fmac_f64_e32 v[108:109], s[10:11], v[86:87]
	;; [unrolled: 1-line block ×3, first 2 shown]
	v_add_f64 v[86:87], v[170:171], v[176:177]
	v_mul_f64 v[40:41], v[102:103], v[234:235]
	v_fmac_f64_e32 v[16:17], -0.5, v[86:87]
	v_fmac_f64_e32 v[40:41], v[100:101], v[232:233]
	v_mul_f64 v[32:33], v[100:101], v[234:235]
	v_fma_f64 v[100:101], s[14:15], v[70:71], v[16:17]
	v_fmac_f64_e32 v[16:17], s[12:13], v[70:71]
	v_fmac_f64_e32 v[100:101], s[4:5], v[68:69]
	v_fmac_f64_e32 v[16:17], s[16:17], v[68:69]
	v_add_f64 v[68:69], v[18:19], v[162:163]
	v_add_f64 v[68:69], v[68:69], v[164:165]
	v_add_f64 v[86:87], v[172:173], -v[170:171]
	v_add_f64 v[88:89], v[174:175], -v[176:177]
	v_add_f64 v[68:69], v[68:69], v[166:167]
	v_add_f64 v[86:87], v[86:87], v[88:89]
	;; [unrolled: 1-line block ×4, first 2 shown]
	v_fmac_f64_e32 v[100:101], s[10:11], v[86:87]
	v_fmac_f64_e32 v[16:17], s[10:11], v[86:87]
	v_fma_f64 v[86:87], -0.5, v[68:69], v[18:19]
	v_add_f64 v[68:69], v[170:171], -v[176:177]
	v_fma_f64 v[110:111], s[14:15], v[68:69], v[86:87]
	v_add_f64 v[70:71], v[172:173], -v[174:175]
	v_add_f64 v[88:89], v[162:163], -v[164:165]
	;; [unrolled: 1-line block ×3, first 2 shown]
	v_fmac_f64_e32 v[86:87], s[12:13], v[68:69]
	v_fmac_f64_e32 v[110:111], s[16:17], v[70:71]
	v_add_f64 v[88:89], v[88:89], v[90:91]
	v_fmac_f64_e32 v[86:87], s[4:5], v[70:71]
	v_fmac_f64_e32 v[110:111], s[10:11], v[88:89]
	;; [unrolled: 1-line block ×3, first 2 shown]
	v_add_f64 v[88:89], v[162:163], v[168:169]
	v_fmac_f64_e32 v[18:19], -0.5, v[88:89]
	v_fma_f64 v[32:33], v[102:103], v[232:233], -v[32:33]
	v_fma_f64 v[102:103], s[12:13], v[70:71], v[18:19]
	v_fmac_f64_e32 v[18:19], s[14:15], v[70:71]
	v_fmac_f64_e32 v[102:103], s[16:17], v[68:69]
	;; [unrolled: 1-line block ×3, first 2 shown]
	v_add_f64 v[68:69], v[4:5], v[80:81]
	v_add_f64 v[68:69], v[68:69], v[82:83]
	v_mul_f64 v[38:39], v[106:107], v[222:223]
	v_add_f64 v[68:69], v[68:69], v[136:137]
	v_fmac_f64_e32 v[38:39], v[104:105], v[220:221]
	v_mul_f64 v[30:31], v[104:105], v[222:223]
	v_add_f64 v[88:89], v[164:165], -v[162:163]
	v_add_f64 v[90:91], v[166:167], -v[168:169]
	v_add_f64 v[104:105], v[68:69], v[138:139]
	v_add_f64 v[68:69], v[82:83], v[136:137]
	v_mul_f64 v[42:43], v[94:95], v[230:231]
	v_mul_f64 v[128:129], v[98:99], v[244:245]
	v_add_f64 v[88:89], v[88:89], v[90:91]
	v_fma_f64 v[68:69], -0.5, v[68:69], v[4:5]
	v_add_f64 v[70:71], v[48:49], -v[78:79]
	v_fmac_f64_e32 v[42:43], v[92:93], v[228:229]
	v_mul_f64 v[34:35], v[92:93], v[230:231]
	v_fmac_f64_e32 v[128:129], v[96:97], v[242:243]
	v_fmac_f64_e32 v[102:103], s[10:11], v[88:89]
	;; [unrolled: 1-line block ×3, first 2 shown]
	v_fma_f64 v[96:97], s[12:13], v[70:71], v[68:69]
	v_add_f64 v[90:91], v[50:51], -v[72:73]
	v_add_f64 v[88:89], v[80:81], -v[82:83]
	;; [unrolled: 1-line block ×3, first 2 shown]
	v_fmac_f64_e32 v[68:69], s[14:15], v[70:71]
	v_fmac_f64_e32 v[96:97], s[4:5], v[90:91]
	v_add_f64 v[88:89], v[88:89], v[92:93]
	v_fmac_f64_e32 v[68:69], s[16:17], v[90:91]
	v_fmac_f64_e32 v[96:97], s[10:11], v[88:89]
	;; [unrolled: 1-line block ×3, first 2 shown]
	v_add_f64 v[88:89], v[80:81], v[138:139]
	v_fmac_f64_e32 v[4:5], -0.5, v[88:89]
	v_fma_f64 v[88:89], s[14:15], v[90:91], v[4:5]
	v_fmac_f64_e32 v[4:5], s[12:13], v[90:91]
	v_fmac_f64_e32 v[88:89], s[4:5], v[70:71]
	;; [unrolled: 1-line block ×3, first 2 shown]
	v_add_f64 v[70:71], v[6:7], v[48:49]
	v_add_f64 v[70:71], v[70:71], v[50:51]
	;; [unrolled: 1-line block ×3, first 2 shown]
	v_fma_f64 v[30:31], v[106:107], v[220:221], -v[30:31]
	v_fma_f64 v[34:35], v[94:95], v[228:229], -v[34:35]
	v_add_f64 v[92:93], v[82:83], -v[80:81]
	v_add_f64 v[94:95], v[136:137], -v[138:139]
	v_add_f64 v[106:107], v[70:71], v[78:79]
	v_add_f64 v[70:71], v[50:51], v[72:73]
	;; [unrolled: 1-line block ×3, first 2 shown]
	v_fma_f64 v[70:71], -0.5, v[70:71], v[6:7]
	v_add_f64 v[80:81], v[80:81], -v[138:139]
	v_fmac_f64_e32 v[88:89], s[10:11], v[92:93]
	v_fmac_f64_e32 v[4:5], s[10:11], v[92:93]
	v_fma_f64 v[98:99], s[14:15], v[80:81], v[70:71]
	v_add_f64 v[82:83], v[82:83], -v[136:137]
	v_add_f64 v[90:91], v[48:49], -v[50:51]
	;; [unrolled: 1-line block ×3, first 2 shown]
	v_fmac_f64_e32 v[70:71], s[12:13], v[80:81]
	v_fmac_f64_e32 v[98:99], s[16:17], v[82:83]
	v_add_f64 v[90:91], v[90:91], v[92:93]
	v_fmac_f64_e32 v[70:71], s[4:5], v[82:83]
	v_fmac_f64_e32 v[98:99], s[10:11], v[90:91]
	;; [unrolled: 1-line block ×3, first 2 shown]
	v_add_f64 v[90:91], v[48:49], v[78:79]
	v_fmac_f64_e32 v[6:7], -0.5, v[90:91]
	v_fma_f64 v[90:91], s[12:13], v[82:83], v[6:7]
	v_add_f64 v[48:49], v[50:51], -v[48:49]
	v_add_f64 v[50:51], v[72:73], -v[78:79]
	v_fmac_f64_e32 v[6:7], s[14:15], v[82:83]
	v_fmac_f64_e32 v[90:91], s[16:17], v[80:81]
	v_add_f64 v[48:49], v[48:49], v[50:51]
	v_fmac_f64_e32 v[6:7], s[4:5], v[80:81]
	v_fmac_f64_e32 v[90:91], s[10:11], v[48:49]
	;; [unrolled: 1-line block ×3, first 2 shown]
	v_add_f64 v[48:49], v[8:9], v[56:57]
	v_add_f64 v[48:49], v[48:49], v[58:59]
	;; [unrolled: 1-line block ×5, first 2 shown]
	v_fma_f64 v[48:49], -0.5, v[48:49], v[8:9]
	v_add_f64 v[50:51], v[24:25], -v[54:55]
	v_fma_f64 v[80:81], s[12:13], v[50:51], v[48:49]
	v_add_f64 v[78:79], v[26:27], -v[52:53]
	v_add_f64 v[72:73], v[56:57], -v[58:59]
	;; [unrolled: 1-line block ×3, first 2 shown]
	v_fmac_f64_e32 v[48:49], s[14:15], v[50:51]
	v_fmac_f64_e32 v[80:81], s[4:5], v[78:79]
	v_add_f64 v[72:73], v[72:73], v[82:83]
	v_fmac_f64_e32 v[48:49], s[16:17], v[78:79]
	v_fmac_f64_e32 v[80:81], s[10:11], v[72:73]
	;; [unrolled: 1-line block ×3, first 2 shown]
	v_add_f64 v[72:73], v[56:57], v[76:77]
	v_fmac_f64_e32 v[8:9], -0.5, v[72:73]
	v_fma_f64 v[72:73], s[14:15], v[78:79], v[8:9]
	v_fmac_f64_e32 v[8:9], s[12:13], v[78:79]
	v_fmac_f64_e32 v[72:73], s[4:5], v[50:51]
	;; [unrolled: 1-line block ×3, first 2 shown]
	v_add_f64 v[50:51], v[10:11], v[24:25]
	v_add_f64 v[50:51], v[50:51], v[26:27]
	v_add_f64 v[82:83], v[58:59], -v[56:57]
	v_add_f64 v[94:95], v[74:75], -v[76:77]
	v_add_f64 v[50:51], v[50:51], v[52:53]
	v_add_f64 v[82:83], v[82:83], v[94:95]
	;; [unrolled: 1-line block ×4, first 2 shown]
	v_fma_f64 v[50:51], -0.5, v[50:51], v[10:11]
	v_add_f64 v[56:57], v[56:57], -v[76:77]
	v_fmac_f64_e32 v[72:73], s[10:11], v[82:83]
	v_fmac_f64_e32 v[8:9], s[10:11], v[82:83]
	v_fma_f64 v[82:83], s[14:15], v[56:57], v[50:51]
	v_add_f64 v[58:59], v[58:59], -v[74:75]
	v_add_f64 v[74:75], v[24:25], -v[26:27]
	;; [unrolled: 1-line block ×3, first 2 shown]
	v_fmac_f64_e32 v[50:51], s[12:13], v[56:57]
	v_fmac_f64_e32 v[82:83], s[16:17], v[58:59]
	v_add_f64 v[74:75], v[74:75], v[76:77]
	v_fmac_f64_e32 v[50:51], s[4:5], v[58:59]
	v_fmac_f64_e32 v[82:83], s[10:11], v[74:75]
	;; [unrolled: 1-line block ×3, first 2 shown]
	v_add_f64 v[74:75], v[24:25], v[54:55]
	v_fmac_f64_e32 v[10:11], -0.5, v[74:75]
	v_fma_f64 v[74:75], s[12:13], v[58:59], v[10:11]
	v_add_f64 v[24:25], v[26:27], -v[24:25]
	v_add_f64 v[26:27], v[52:53], -v[54:55]
	v_fmac_f64_e32 v[10:11], s[14:15], v[58:59]
	v_fmac_f64_e32 v[74:75], s[16:17], v[56:57]
	v_add_f64 v[24:25], v[24:25], v[26:27]
	v_fmac_f64_e32 v[10:11], s[4:5], v[56:57]
	v_fmac_f64_e32 v[74:75], s[10:11], v[24:25]
	;; [unrolled: 1-line block ×3, first 2 shown]
	v_add_f64 v[24:25], v[0:1], v[36:37]
	v_add_f64 v[24:25], v[24:25], v[38:39]
	;; [unrolled: 1-line block ×5, first 2 shown]
	v_fma_f64 v[24:25], -0.5, v[24:25], v[0:1]
	v_add_f64 v[26:27], v[28:29], -v[34:35]
	v_fma_f64 v[56:57], s[12:13], v[26:27], v[24:25]
	v_add_f64 v[54:55], v[30:31], -v[32:33]
	v_add_f64 v[52:53], v[36:37], -v[38:39]
	;; [unrolled: 1-line block ×3, first 2 shown]
	v_fmac_f64_e32 v[24:25], s[14:15], v[26:27]
	v_fmac_f64_e32 v[56:57], s[4:5], v[54:55]
	v_add_f64 v[52:53], v[52:53], v[58:59]
	v_fmac_f64_e32 v[24:25], s[16:17], v[54:55]
	v_fmac_f64_e32 v[56:57], s[10:11], v[52:53]
	;; [unrolled: 1-line block ×3, first 2 shown]
	v_add_f64 v[52:53], v[36:37], v[42:43]
	v_fmac_f64_e32 v[0:1], -0.5, v[52:53]
	v_fma_f64 v[52:53], s[14:15], v[54:55], v[0:1]
	v_fmac_f64_e32 v[0:1], s[12:13], v[54:55]
	v_fmac_f64_e32 v[52:53], s[4:5], v[26:27]
	;; [unrolled: 1-line block ×3, first 2 shown]
	v_add_f64 v[26:27], v[2:3], v[28:29]
	v_add_f64 v[26:27], v[26:27], v[30:31]
	v_add_f64 v[58:59], v[38:39], -v[36:37]
	v_add_f64 v[78:79], v[40:41], -v[42:43]
	v_add_f64 v[26:27], v[26:27], v[32:33]
	v_add_f64 v[58:59], v[58:59], v[78:79]
	;; [unrolled: 1-line block ×4, first 2 shown]
	v_fma_f64 v[26:27], -0.5, v[26:27], v[2:3]
	v_add_f64 v[36:37], v[36:37], -v[42:43]
	v_fmac_f64_e32 v[52:53], s[10:11], v[58:59]
	v_fmac_f64_e32 v[0:1], s[10:11], v[58:59]
	v_fma_f64 v[58:59], s[14:15], v[36:37], v[26:27]
	v_add_f64 v[38:39], v[38:39], -v[40:41]
	v_add_f64 v[40:41], v[28:29], -v[30:31]
	;; [unrolled: 1-line block ×3, first 2 shown]
	v_fmac_f64_e32 v[26:27], s[12:13], v[36:37]
	v_fmac_f64_e32 v[58:59], s[16:17], v[38:39]
	v_add_f64 v[40:41], v[40:41], v[42:43]
	v_fmac_f64_e32 v[26:27], s[4:5], v[38:39]
	v_fmac_f64_e32 v[58:59], s[10:11], v[40:41]
	;; [unrolled: 1-line block ×3, first 2 shown]
	v_add_f64 v[40:41], v[28:29], v[34:35]
	v_fmac_f64_e32 v[2:3], -0.5, v[40:41]
	v_fma_f64 v[54:55], s[12:13], v[38:39], v[2:3]
	v_add_f64 v[28:29], v[30:31], -v[28:29]
	v_add_f64 v[30:31], v[32:33], -v[34:35]
	v_fmac_f64_e32 v[2:3], s[14:15], v[38:39]
	v_fmac_f64_e32 v[54:55], s[16:17], v[36:37]
	v_add_f64 v[28:29], v[28:29], v[30:31]
	v_fmac_f64_e32 v[2:3], s[4:5], v[36:37]
	v_mul_f64 v[132:133], v[142:143], v[210:211]
	v_fmac_f64_e32 v[54:55], s[10:11], v[28:29]
	v_fmac_f64_e32 v[2:3], s[10:11], v[28:29]
	v_add_f64 v[28:29], v[12:13], v[124:125]
	v_fmac_f64_e32 v[132:133], v[140:141], v[208:209]
	v_mul_f64 v[134:135], v[190:191], v[252:253]
	v_add_f64 v[28:29], v[28:29], v[128:129]
	v_fmac_f64_e32 v[134:135], v[188:189], v[250:251]
	v_add_f64 v[28:29], v[28:29], v[132:133]
	v_add_f64 v[36:37], v[28:29], v[134:135]
	;; [unrolled: 1-line block ×3, first 2 shown]
	v_fma_f64 v[28:29], -0.5, v[28:29], v[12:13]
	v_add_f64 v[30:31], v[120:121], -v[130:131]
	v_fma_f64 v[32:33], s[12:13], v[30:31], v[28:29]
	v_add_f64 v[34:35], v[122:123], -v[126:127]
	v_add_f64 v[38:39], v[124:125], -v[128:129]
	;; [unrolled: 1-line block ×3, first 2 shown]
	v_fmac_f64_e32 v[28:29], s[14:15], v[30:31]
	v_fmac_f64_e32 v[32:33], s[4:5], v[34:35]
	v_add_f64 v[38:39], v[38:39], v[40:41]
	v_fmac_f64_e32 v[28:29], s[16:17], v[34:35]
	v_fmac_f64_e32 v[32:33], s[10:11], v[38:39]
	;; [unrolled: 1-line block ×3, first 2 shown]
	v_add_f64 v[38:39], v[124:125], v[134:135]
	v_fmac_f64_e32 v[12:13], -0.5, v[38:39]
	v_fma_f64 v[40:41], s[14:15], v[34:35], v[12:13]
	v_fmac_f64_e32 v[12:13], s[12:13], v[34:35]
	v_fmac_f64_e32 v[40:41], s[4:5], v[30:31]
	v_fmac_f64_e32 v[12:13], s[16:17], v[30:31]
	v_add_f64 v[30:31], v[14:15], v[120:121]
	v_add_f64 v[38:39], v[128:129], -v[124:125]
	v_add_f64 v[42:43], v[132:133], -v[134:135]
	v_add_f64 v[30:31], v[30:31], v[122:123]
	v_add_f64 v[38:39], v[38:39], v[42:43]
	;; [unrolled: 1-line block ×3, first 2 shown]
	v_fmac_f64_e32 v[40:41], s[10:11], v[38:39]
	v_fmac_f64_e32 v[12:13], s[10:11], v[38:39]
	v_add_f64 v[38:39], v[30:31], v[130:131]
	v_add_f64 v[30:31], v[122:123], v[126:127]
	v_fma_f64 v[30:31], -0.5, v[30:31], v[14:15]
	v_add_f64 v[124:125], v[124:125], -v[134:135]
	v_fma_f64 v[34:35], s[14:15], v[124:125], v[30:31]
	v_add_f64 v[128:129], v[128:129], -v[132:133]
	v_add_f64 v[42:43], v[120:121], -v[122:123]
	;; [unrolled: 1-line block ×3, first 2 shown]
	v_fmac_f64_e32 v[30:31], s[12:13], v[124:125]
	v_fmac_f64_e32 v[34:35], s[16:17], v[128:129]
	v_add_f64 v[42:43], v[42:43], v[132:133]
	v_fmac_f64_e32 v[30:31], s[4:5], v[128:129]
	v_fmac_f64_e32 v[34:35], s[10:11], v[42:43]
	;; [unrolled: 1-line block ×3, first 2 shown]
	v_add_f64 v[42:43], v[120:121], v[130:131]
	v_fmac_f64_e32 v[14:15], -0.5, v[42:43]
	v_fma_f64 v[42:43], s[12:13], v[128:129], v[14:15]
	v_add_f64 v[120:121], v[122:123], -v[120:121]
	v_add_f64 v[122:123], v[126:127], -v[130:131]
	v_fmac_f64_e32 v[14:15], s[14:15], v[128:129]
	v_fmac_f64_e32 v[42:43], s[16:17], v[124:125]
	v_add_f64 v[120:121], v[120:121], v[122:123]
	v_fmac_f64_e32 v[14:15], s[4:5], v[124:125]
	v_mov_b32_e32 v242, 4
	v_fmac_f64_e32 v[42:43], s[10:11], v[120:121]
	v_fmac_f64_e32 v[14:15], s[10:11], v[120:121]
	v_mul_u32_u24_e32 v120, 0xf0, v197
	v_lshlrev_b32_sdwa v121, v242, v198 dst_sel:DWORD dst_unused:UNUSED_PAD src0_sel:DWORD src1_sel:BYTE_0
	v_add3_u32 v120, 0, v120, v121
	s_barrier
	ds_write_b128 v120, v[116:119]
	ds_write_b128 v120, v[64:67] offset:48
	ds_write_b128 v120, v[60:63] offset:96
	;; [unrolled: 1-line block ×4, first 2 shown]
	v_mul_u32_u24_e32 v20, 0xf0, v187
	v_lshlrev_b32_sdwa v21, v242, v199 dst_sel:DWORD dst_unused:UNUSED_PAD src0_sel:DWORD src1_sel:BYTE_0
	v_add3_u32 v20, 0, v20, v21
	ds_write_b128 v20, v[112:115]
	ds_write_b128 v20, v[108:111] offset:48
	ds_write_b128 v20, v[100:103] offset:96
	ds_write_b128 v20, v[16:19] offset:144
	ds_write_b128 v20, v[84:87] offset:192
	v_mul_u32_u24_e32 v16, 0xf0, v236
	v_lshlrev_b32_e32 v17, 4, v237
	v_add3_u32 v16, 0, v16, v17
	ds_write_b128 v16, v[104:107]
	ds_write_b128 v16, v[96:99] offset:48
	ds_write_b128 v16, v[88:91] offset:96
	ds_write_b128 v16, v[4:7] offset:144
	ds_write_b128 v16, v[68:71] offset:192
	v_mul_u32_u24_e32 v4, 0xf0, v207
	v_lshlrev_b32_e32 v5, 4, v192
	;; [unrolled: 8-line block ×4, first 2 shown]
	v_add3_u32 v0, 0, v0, v1
	ds_write_b128 v0, v[36:39]
	ds_write_b128 v0, v[32:35] offset:48
	ds_write_b128 v0, v[40:43] offset:96
	;; [unrolled: 1-line block ×4, first 2 shown]
	v_mul_lo_u16_sdwa v0, v202, s18 dst_sel:DWORD dst_unused:UNUSED_PAD src0_sel:BYTE_0 src1_sel:DWORD
	v_lshrrev_b16_e32 v220, 11, v0
	v_mul_lo_u16_e32 v0, 15, v220
	v_sub_u16_e32 v221, v202, v0
	v_lshlrev_b32_sdwa v0, v186, v221 dst_sel:DWORD dst_unused:UNUSED_PAD src0_sel:DWORD src1_sel:BYTE_0
	s_waitcnt lgkmcnt(0)
	s_barrier
	global_load_dwordx4 v[80:83], v0, s[8:9] offset:192
	global_load_dwordx4 v[44:47], v0, s[8:9] offset:208
	;; [unrolled: 1-line block ×4, first 2 shown]
	v_mul_lo_u16_sdwa v0, v206, s18 dst_sel:DWORD dst_unused:UNUSED_PAD src0_sel:BYTE_0 src1_sel:DWORD
	v_lshrrev_b16_e32 v207, 11, v0
	v_mul_lo_u16_e32 v0, 15, v207
	v_sub_u16_e32 v243, v206, v0
	v_lshlrev_b32_sdwa v12, v186, v243 dst_sel:DWORD dst_unused:UNUSED_PAD src0_sel:DWORD src1_sel:BYTE_0
	s_mov_b32 s18, 0x8889
	ds_read_b128 v[16:19], v213
	ds_read_b128 v[4:7], v239
	ds_read_b128 v[40:43], v238 offset:14000
	ds_read_b128 v[28:31], v238 offset:16000
	;; [unrolled: 1-line block ×4, first 2 shown]
	global_load_dwordx4 v[52:55], v12, s[8:9] offset:208
	global_load_dwordx4 v[76:79], v12, s[8:9] offset:192
	ds_read_b128 v[64:67], v238 offset:38000
	ds_read_b128 v[56:59], v238 offset:40000
	;; [unrolled: 1-line block ×4, first 2 shown]
	ds_read_b128 v[8:11], v241
	ds_read_b128 v[0:3], v240
	global_load_dwordx4 v[68:71], v12, s[8:9] offset:240
	global_load_dwordx4 v[72:75], v12, s[8:9] offset:224
	v_mul_u32_u24_sdwa v12, v218, s18 dst_sel:DWORD dst_unused:UNUSED_PAD src0_sel:WORD_0 src1_sel:DWORD
	v_lshrrev_b32_e32 v203, 19, v12
	v_mul_lo_u16_e32 v12, 15, v203
	v_sub_u16_e32 v215, v218, v12
	v_lshlrev_b32_e32 v12, 6, v215
	global_load_dwordx4 v[104:107], v12, s[8:9] offset:208
	global_load_dwordx4 v[128:131], v12, s[8:9] offset:192
	ds_read_b128 v[116:119], v238 offset:18000
	ds_read_b128 v[100:103], v238 offset:20000
	;; [unrolled: 1-line block ×6, first 2 shown]
	global_load_dwordx4 v[120:123], v12, s[8:9] offset:240
	global_load_dwordx4 v[124:127], v12, s[8:9] offset:224
	v_mul_u32_u24_sdwa v12, v216, s18 dst_sel:DWORD dst_unused:UNUSED_PAD src0_sel:WORD_0 src1_sel:DWORD
	v_lshrrev_b32_e32 v194, 19, v12
	v_mul_lo_u16_e32 v12, 15, v194
	v_sub_u16_e32 v195, v216, v12
	v_lshlrev_b32_e32 v84, 6, v195
	global_load_dwordx4 v[140:143], v84, s[8:9] offset:208
	global_load_dwordx4 v[156:159], v84, s[8:9] offset:192
	ds_read_b128 v[144:147], v238 offset:54000
	ds_read_b128 v[132:135], v238 offset:56000
	ds_read_b128 v[162:165], v219
	ds_read_b128 v[12:15], v217
	ds_read_b128 v[166:169], v238 offset:24000
	ds_read_b128 v[88:91], v238 offset:22000
	v_mul_u32_u24_sdwa v136, v214, s18 dst_sel:DWORD dst_unused:UNUSED_PAD src0_sel:WORD_0 src1_sel:DWORD
	v_lshrrev_b32_e32 v198, 19, v136
	v_mul_lo_u16_e32 v136, 15, v198
	v_sub_u16_e32 v199, v214, v136
	v_lshlrev_b32_e32 v178, 6, v199
	global_load_dwordx4 v[148:151], v84, s[8:9] offset:240
	global_load_dwordx4 v[152:155], v84, s[8:9] offset:224
	ds_read_b128 v[170:173], v238 offset:36000
	ds_read_b128 v[84:87], v238 offset:34000
	global_load_dwordx4 v[208:211], v178, s[8:9] offset:208
	global_load_dwordx4 v[222:225], v178, s[8:9] offset:192
	ds_read_b128 v[174:177], v238 offset:48000
	ds_read_b128 v[136:139], v238 offset:46000
	global_load_dwordx4 v[226:229], v178, s[8:9] offset:240
	global_load_dwordx4 v[230:233], v178, s[8:9] offset:224
	s_waitcnt vmcnt(19) lgkmcnt(7)
	v_mul_f64 v[160:161], v[164:165], v[82:83]
	v_fmac_f64_e32 v[160:161], v[162:163], v[80:81]
	v_mul_f64 v[82:83], v[162:163], v[82:83]
	v_mul_u32_u24_sdwa v162, v212, s18 dst_sel:DWORD dst_unused:UNUSED_PAD src0_sel:WORD_0 src1_sel:DWORD
	v_lshrrev_b32_e32 v196, 19, v162
	v_mul_lo_u16_e32 v162, 15, v196
	v_sub_u16_e32 v197, v212, v162
	v_lshlrev_b32_e32 v162, 6, v197
	global_load_dwordx4 v[234:237], v162, s[8:9] offset:208
	global_load_dwordx4 v[244:247], v162, s[8:9] offset:192
	;; [unrolled: 1-line block ×4, first 2 shown]
	s_waitcnt vmcnt(21) lgkmcnt(1)
	v_mul_f64 v[188:189], v[176:177], v[38:39]
	v_fmac_f64_e32 v[188:189], v[174:175], v[36:37]
	v_mul_f64 v[38:39], v[174:175], v[38:39]
	s_waitcnt vmcnt(19)
	v_mul_f64 v[174:175], v[34:35], v[54:55]
	v_fma_f64 v[80:81], v[164:165], v[80:81], -v[82:83]
	v_mul_f64 v[82:83], v[168:169], v[46:47]
	v_mul_f64 v[46:47], v[166:167], v[46:47]
	v_fmac_f64_e32 v[174:175], v[32:33], v[52:53]
	v_mul_f64 v[32:33], v[32:33], v[54:55]
	v_fma_f64 v[180:181], v[168:169], v[44:45], -v[46:47]
	v_mul_f64 v[186:187], v[172:173], v[22:23]
	v_mul_f64 v[22:23], v[170:171], v[22:23]
	v_fma_f64 v[184:185], v[176:177], v[36:37], -v[38:39]
	v_fma_f64 v[168:169], v[34:35], v[52:53], -v[32:33]
	s_waitcnt vmcnt(16)
	v_mul_f64 v[176:177], v[66:67], v[74:75]
	v_mul_f64 v[32:33], v[64:65], v[74:75]
	s_waitcnt vmcnt(15)
	v_mul_f64 v[74:75], v[26:27], v[106:107]
	v_fmac_f64_e32 v[186:187], v[170:171], v[20:21]
	v_fma_f64 v[182:183], v[172:173], v[20:21], -v[22:23]
	ds_read_b128 v[20:23], v238
	ds_read_b128 v[190:193], v238 offset:58000
	v_fmac_f64_e32 v[74:75], v[24:25], v[104:105]
	v_mul_f64 v[24:25], v[24:25], v[106:107]
	v_fma_f64 v[46:47], v[26:27], v[104:105], -v[24:25]
	s_waitcnt vmcnt(12)
	v_mul_f64 v[24:25], v[56:57], v[126:127]
	v_fmac_f64_e32 v[176:177], v[64:65], v[72:73]
	v_fma_f64 v[64:65], v[58:59], v[124:125], -v[24:25]
	v_mul_f64 v[164:165], v[50:51], v[122:123]
	v_mul_f64 v[24:25], v[48:49], v[122:123]
	v_fma_f64 v[170:171], v[66:67], v[72:73], -v[32:33]
	v_mul_f64 v[178:179], v[62:63], v[70:71]
	v_mul_f64 v[32:33], v[60:61], v[70:71]
	v_fmac_f64_e32 v[164:165], v[48:49], v[120:121]
	v_fma_f64 v[70:71], v[50:51], v[120:121], -v[24:25]
	v_mul_f64 v[72:73], v[30:31], v[130:131]
	v_mul_f64 v[162:163], v[58:59], v[126:127]
	v_fmac_f64_e32 v[82:83], v[166:167], v[44:45]
	v_fmac_f64_e32 v[72:73], v[28:29], v[128:129]
	v_mul_f64 v[28:29], v[28:29], v[130:131]
	v_fmac_f64_e32 v[162:163], v[56:57], v[124:125]
	s_waitcnt vmcnt(10)
	v_mul_f64 v[56:57], v[118:119], v[158:159]
	v_fmac_f64_e32 v[56:57], v[116:117], v[156:157]
	v_mul_f64 v[24:25], v[116:117], v[158:159]
	v_mul_f64 v[172:173], v[42:43], v[78:79]
	;; [unrolled: 1-line block ×3, first 2 shown]
	v_fma_f64 v[44:45], v[30:31], v[128:129], -v[28:29]
	v_add_f64 v[54:55], v[80:81], -v[184:185]
	v_fmac_f64_e32 v[172:173], v[40:41], v[76:77]
	v_fma_f64 v[166:167], v[42:43], v[76:77], -v[36:37]
	v_fmac_f64_e32 v[178:179], v[60:61], v[68:69]
	v_fma_f64 v[60:61], v[62:63], v[68:69], -v[32:33]
	v_add_f64 v[62:63], v[180:181], -v[182:183]
	v_add_f64 v[76:77], v[160:161], -v[82:83]
	;; [unrolled: 1-line block ×3, first 2 shown]
	v_add_f64 v[76:77], v[76:77], v[78:79]
	v_fma_f64 v[24:25], v[118:119], v[156:157], -v[24:25]
	v_add_f64 v[78:79], v[82:83], -v[160:161]
	v_mul_f64 v[58:59], v[114:115], v[142:143]
	v_fmac_f64_e32 v[58:59], v[112:113], v[140:141]
	v_mul_f64 v[26:27], v[112:113], v[142:143]
	s_waitcnt vmcnt(8)
	v_mul_f64 v[66:67], v[110:111], v[154:155]
	v_fmac_f64_e32 v[66:67], v[108:109], v[152:153]
	v_mul_f64 v[28:29], v[108:109], v[154:155]
	v_fma_f64 v[48:49], v[110:111], v[152:153], -v[28:29]
	v_mul_f64 v[28:29], v[144:145], v[150:151]
	s_waitcnt vmcnt(6)
	v_mul_f64 v[36:37], v[102:103], v[224:225]
	v_fma_f64 v[50:51], v[146:147], v[148:149], -v[28:29]
	v_fmac_f64_e32 v[36:37], v[100:101], v[222:223]
	v_mul_f64 v[28:29], v[100:101], v[224:225]
	v_fma_f64 v[26:27], v[114:115], v[140:141], -v[26:27]
	s_waitcnt vmcnt(4)
	v_mul_f64 v[40:41], v[94:95], v[232:233]
	v_fmac_f64_e32 v[40:41], v[92:93], v[230:231]
	v_mul_f64 v[32:33], v[92:93], v[232:233]
	v_add_f64 v[92:93], v[60:61], -v[170:171]
	v_fma_f64 v[28:29], v[102:103], v[222:223], -v[28:29]
	v_mul_f64 v[38:39], v[98:99], v[210:211]
	v_fmac_f64_e32 v[38:39], v[96:97], v[208:209]
	v_mul_f64 v[30:31], v[96:97], v[210:211]
	s_waitcnt vmcnt(3)
	v_mul_f64 v[128:129], v[86:87], v[236:237]
	s_waitcnt vmcnt(2)
	v_mul_f64 v[52:53], v[88:89], v[246:247]
	v_fma_f64 v[120:121], v[90:91], v[244:245], -v[52:53]
	v_mul_f64 v[52:53], v[84:85], v[236:237]
	v_fma_f64 v[122:123], v[86:87], v[234:235], -v[52:53]
	s_waitcnt vmcnt(0) lgkmcnt(2)
	v_mul_f64 v[52:53], v[136:137], v[254:255]
	v_fma_f64 v[126:127], v[138:139], v[252:253], -v[52:53]
	s_waitcnt lgkmcnt(0)
	v_mul_f64 v[52:53], v[190:191], v[250:251]
	v_fma_f64 v[130:131], v[192:193], v[248:249], -v[52:53]
	v_add_f64 v[52:53], v[20:21], v[160:161]
	v_add_f64 v[52:53], v[52:53], v[82:83]
	;; [unrolled: 1-line block ×5, first 2 shown]
	v_fma_f64 v[52:53], -0.5, v[52:53], v[20:21]
	v_fmac_f64_e32 v[128:129], v[84:85], v[234:235]
	v_fma_f64 v[84:85], s[12:13], v[54:55], v[52:53]
	v_fmac_f64_e32 v[52:53], s[14:15], v[54:55]
	v_fmac_f64_e32 v[84:85], s[4:5], v[62:63]
	;; [unrolled: 1-line block ×5, first 2 shown]
	v_add_f64 v[76:77], v[160:161], v[188:189]
	v_fmac_f64_e32 v[20:21], -0.5, v[76:77]
	v_fma_f64 v[76:77], s[14:15], v[62:63], v[20:21]
	v_fmac_f64_e32 v[20:21], s[12:13], v[62:63]
	v_fmac_f64_e32 v[76:77], s[4:5], v[54:55]
	;; [unrolled: 1-line block ×3, first 2 shown]
	v_add_f64 v[54:55], v[22:23], v[80:81]
	v_add_f64 v[54:55], v[54:55], v[180:181]
	;; [unrolled: 1-line block ×3, first 2 shown]
	v_add_f64 v[86:87], v[186:187], -v[188:189]
	v_add_f64 v[118:119], v[54:55], v[184:185]
	v_add_f64 v[54:55], v[180:181], v[182:183]
	v_mul_f64 v[124:125], v[90:91], v[246:247]
	v_add_f64 v[78:79], v[78:79], v[86:87]
	v_fma_f64 v[54:55], -0.5, v[54:55], v[22:23]
	v_add_f64 v[62:63], v[160:161], -v[188:189]
	v_fmac_f64_e32 v[124:125], v[88:89], v[244:245]
	v_fmac_f64_e32 v[76:77], s[10:11], v[78:79]
	;; [unrolled: 1-line block ×3, first 2 shown]
	v_fma_f64 v[86:87], s[14:15], v[62:63], v[54:55]
	v_add_f64 v[82:83], v[82:83], -v[186:187]
	v_add_f64 v[78:79], v[80:81], -v[180:181]
	;; [unrolled: 1-line block ×3, first 2 shown]
	v_fmac_f64_e32 v[54:55], s[12:13], v[62:63]
	v_fmac_f64_e32 v[86:87], s[16:17], v[82:83]
	v_add_f64 v[78:79], v[78:79], v[88:89]
	v_fmac_f64_e32 v[54:55], s[4:5], v[82:83]
	v_fmac_f64_e32 v[86:87], s[10:11], v[78:79]
	;; [unrolled: 1-line block ×3, first 2 shown]
	v_add_f64 v[78:79], v[80:81], v[184:185]
	v_fmac_f64_e32 v[22:23], -0.5, v[78:79]
	v_fma_f64 v[78:79], s[12:13], v[82:83], v[22:23]
	v_fmac_f64_e32 v[22:23], s[14:15], v[82:83]
	v_fmac_f64_e32 v[78:79], s[16:17], v[62:63]
	;; [unrolled: 1-line block ×3, first 2 shown]
	v_add_f64 v[62:63], v[16:17], v[172:173]
	v_add_f64 v[62:63], v[62:63], v[174:175]
	v_add_f64 v[80:81], v[180:181], -v[80:81]
	v_add_f64 v[88:89], v[182:183], -v[184:185]
	v_add_f64 v[62:63], v[62:63], v[176:177]
	v_add_f64 v[80:81], v[80:81], v[88:89]
	;; [unrolled: 1-line block ×4, first 2 shown]
	v_fmac_f64_e32 v[78:79], s[10:11], v[80:81]
	v_fmac_f64_e32 v[22:23], s[10:11], v[80:81]
	v_fma_f64 v[80:81], -0.5, v[62:63], v[16:17]
	v_add_f64 v[62:63], v[166:167], -v[60:61]
	v_fma_f64 v[108:109], s[12:13], v[62:63], v[80:81]
	v_add_f64 v[82:83], v[168:169], -v[170:171]
	v_add_f64 v[88:89], v[172:173], -v[174:175]
	;; [unrolled: 1-line block ×3, first 2 shown]
	v_fmac_f64_e32 v[80:81], s[14:15], v[62:63]
	v_fmac_f64_e32 v[108:109], s[4:5], v[82:83]
	v_add_f64 v[88:89], v[88:89], v[90:91]
	v_fmac_f64_e32 v[80:81], s[16:17], v[82:83]
	v_fmac_f64_e32 v[108:109], s[10:11], v[88:89]
	;; [unrolled: 1-line block ×3, first 2 shown]
	v_add_f64 v[88:89], v[172:173], v[178:179]
	v_fmac_f64_e32 v[16:17], -0.5, v[88:89]
	v_fma_f64 v[100:101], s[14:15], v[82:83], v[16:17]
	v_fmac_f64_e32 v[16:17], s[12:13], v[82:83]
	v_fmac_f64_e32 v[100:101], s[4:5], v[62:63]
	;; [unrolled: 1-line block ×3, first 2 shown]
	v_add_f64 v[62:63], v[18:19], v[166:167]
	v_add_f64 v[62:63], v[62:63], v[168:169]
	;; [unrolled: 1-line block ×3, first 2 shown]
	v_add_f64 v[88:89], v[174:175], -v[172:173]
	v_add_f64 v[90:91], v[176:177], -v[178:179]
	v_add_f64 v[114:115], v[62:63], v[60:61]
	v_add_f64 v[62:63], v[168:169], v[170:171]
	;; [unrolled: 1-line block ×3, first 2 shown]
	v_fma_f64 v[82:83], -0.5, v[62:63], v[18:19]
	v_add_f64 v[62:63], v[172:173], -v[178:179]
	v_fmac_f64_e32 v[100:101], s[10:11], v[88:89]
	v_fmac_f64_e32 v[16:17], s[10:11], v[88:89]
	v_fma_f64 v[110:111], s[14:15], v[62:63], v[82:83]
	v_add_f64 v[88:89], v[174:175], -v[176:177]
	v_add_f64 v[90:91], v[166:167], -v[168:169]
	v_fmac_f64_e32 v[82:83], s[12:13], v[62:63]
	v_fmac_f64_e32 v[110:111], s[16:17], v[88:89]
	v_add_f64 v[90:91], v[90:91], v[92:93]
	v_fmac_f64_e32 v[82:83], s[4:5], v[88:89]
	v_fmac_f64_e32 v[110:111], s[10:11], v[90:91]
	;; [unrolled: 1-line block ×3, first 2 shown]
	v_add_f64 v[90:91], v[166:167], v[60:61]
	v_fmac_f64_e32 v[18:19], -0.5, v[90:91]
	v_fma_f64 v[102:103], s[12:13], v[88:89], v[18:19]
	v_add_f64 v[90:91], v[168:169], -v[166:167]
	v_add_f64 v[60:61], v[170:171], -v[60:61]
	v_fmac_f64_e32 v[18:19], s[14:15], v[88:89]
	v_fmac_f64_e32 v[102:103], s[16:17], v[62:63]
	v_add_f64 v[60:61], v[90:91], v[60:61]
	v_fmac_f64_e32 v[18:19], s[4:5], v[62:63]
	v_fmac_f64_e32 v[102:103], s[10:11], v[60:61]
	;; [unrolled: 1-line block ×3, first 2 shown]
	v_add_f64 v[60:61], v[4:5], v[72:73]
	v_add_f64 v[60:61], v[60:61], v[74:75]
	;; [unrolled: 1-line block ×5, first 2 shown]
	v_fma_f64 v[60:61], -0.5, v[60:61], v[4:5]
	v_add_f64 v[62:63], v[44:45], -v[70:71]
	v_fma_f64 v[96:97], s[12:13], v[62:63], v[60:61]
	v_add_f64 v[90:91], v[46:47], -v[64:65]
	v_add_f64 v[88:89], v[72:73], -v[74:75]
	;; [unrolled: 1-line block ×3, first 2 shown]
	v_fmac_f64_e32 v[60:61], s[14:15], v[62:63]
	v_fmac_f64_e32 v[96:97], s[4:5], v[90:91]
	v_add_f64 v[88:89], v[88:89], v[92:93]
	v_fmac_f64_e32 v[60:61], s[16:17], v[90:91]
	v_fmac_f64_e32 v[96:97], s[10:11], v[88:89]
	;; [unrolled: 1-line block ×3, first 2 shown]
	v_add_f64 v[88:89], v[72:73], v[164:165]
	v_fmac_f64_e32 v[4:5], -0.5, v[88:89]
	v_fma_f64 v[88:89], s[14:15], v[90:91], v[4:5]
	v_fmac_f64_e32 v[4:5], s[12:13], v[90:91]
	v_fmac_f64_e32 v[88:89], s[4:5], v[62:63]
	;; [unrolled: 1-line block ×3, first 2 shown]
	v_add_f64 v[62:63], v[6:7], v[44:45]
	v_add_f64 v[62:63], v[62:63], v[46:47]
	v_add_f64 v[62:63], v[62:63], v[64:65]
	v_fma_f64 v[32:33], v[94:95], v[230:231], -v[32:33]
	v_add_f64 v[92:93], v[74:75], -v[72:73]
	v_add_f64 v[94:95], v[162:163], -v[164:165]
	v_add_f64 v[106:107], v[62:63], v[70:71]
	v_add_f64 v[62:63], v[46:47], v[64:65]
	;; [unrolled: 1-line block ×3, first 2 shown]
	v_fma_f64 v[62:63], -0.5, v[62:63], v[6:7]
	v_add_f64 v[72:73], v[72:73], -v[164:165]
	v_fma_f64 v[30:31], v[98:99], v[208:209], -v[30:31]
	v_fmac_f64_e32 v[88:89], s[10:11], v[92:93]
	v_fmac_f64_e32 v[4:5], s[10:11], v[92:93]
	v_fma_f64 v[98:99], s[14:15], v[72:73], v[62:63]
	v_add_f64 v[74:75], v[74:75], -v[162:163]
	v_add_f64 v[90:91], v[44:45], -v[46:47]
	v_add_f64 v[92:93], v[70:71], -v[64:65]
	v_fmac_f64_e32 v[62:63], s[12:13], v[72:73]
	v_fmac_f64_e32 v[98:99], s[16:17], v[74:75]
	v_add_f64 v[90:91], v[90:91], v[92:93]
	v_fmac_f64_e32 v[62:63], s[4:5], v[74:75]
	v_fmac_f64_e32 v[98:99], s[10:11], v[90:91]
	;; [unrolled: 1-line block ×3, first 2 shown]
	v_add_f64 v[90:91], v[44:45], v[70:71]
	v_fmac_f64_e32 v[6:7], -0.5, v[90:91]
	v_fma_f64 v[90:91], s[12:13], v[74:75], v[6:7]
	v_add_f64 v[44:45], v[46:47], -v[44:45]
	v_add_f64 v[46:47], v[64:65], -v[70:71]
	v_fmac_f64_e32 v[6:7], s[14:15], v[74:75]
	v_fmac_f64_e32 v[90:91], s[16:17], v[72:73]
	v_add_f64 v[44:45], v[44:45], v[46:47]
	v_fmac_f64_e32 v[6:7], s[4:5], v[72:73]
	v_fmac_f64_e32 v[90:91], s[10:11], v[44:45]
	;; [unrolled: 1-line block ×3, first 2 shown]
	v_add_f64 v[44:45], v[8:9], v[56:57]
	v_mul_f64 v[68:69], v[146:147], v[150:151]
	v_add_f64 v[44:45], v[44:45], v[58:59]
	v_fmac_f64_e32 v[68:69], v[144:145], v[148:149]
	v_add_f64 v[44:45], v[44:45], v[66:67]
	v_add_f64 v[92:93], v[44:45], v[68:69]
	;; [unrolled: 1-line block ×3, first 2 shown]
	v_fma_f64 v[44:45], -0.5, v[44:45], v[8:9]
	v_add_f64 v[46:47], v[24:25], -v[50:51]
	v_fma_f64 v[72:73], s[12:13], v[46:47], v[44:45]
	v_add_f64 v[70:71], v[26:27], -v[48:49]
	v_add_f64 v[64:65], v[56:57], -v[58:59]
	;; [unrolled: 1-line block ×3, first 2 shown]
	v_fmac_f64_e32 v[44:45], s[14:15], v[46:47]
	v_fmac_f64_e32 v[72:73], s[4:5], v[70:71]
	v_add_f64 v[64:65], v[64:65], v[74:75]
	v_fmac_f64_e32 v[44:45], s[16:17], v[70:71]
	v_fmac_f64_e32 v[72:73], s[10:11], v[64:65]
	;; [unrolled: 1-line block ×3, first 2 shown]
	v_add_f64 v[64:65], v[56:57], v[68:69]
	v_fmac_f64_e32 v[8:9], -0.5, v[64:65]
	v_fma_f64 v[64:65], s[14:15], v[70:71], v[8:9]
	v_fmac_f64_e32 v[8:9], s[12:13], v[70:71]
	v_fmac_f64_e32 v[64:65], s[4:5], v[46:47]
	;; [unrolled: 1-line block ×3, first 2 shown]
	v_add_f64 v[46:47], v[10:11], v[24:25]
	v_add_f64 v[46:47], v[46:47], v[26:27]
	v_add_f64 v[74:75], v[58:59], -v[56:57]
	v_add_f64 v[94:95], v[66:67], -v[68:69]
	v_add_f64 v[46:47], v[46:47], v[48:49]
	v_add_f64 v[74:75], v[74:75], v[94:95]
	;; [unrolled: 1-line block ×4, first 2 shown]
	v_fma_f64 v[46:47], -0.5, v[46:47], v[10:11]
	v_add_f64 v[56:57], v[56:57], -v[68:69]
	v_fmac_f64_e32 v[64:65], s[10:11], v[74:75]
	v_fmac_f64_e32 v[8:9], s[10:11], v[74:75]
	v_fma_f64 v[74:75], s[14:15], v[56:57], v[46:47]
	v_add_f64 v[58:59], v[58:59], -v[66:67]
	v_add_f64 v[66:67], v[24:25], -v[26:27]
	;; [unrolled: 1-line block ×3, first 2 shown]
	v_fmac_f64_e32 v[46:47], s[12:13], v[56:57]
	v_fmac_f64_e32 v[74:75], s[16:17], v[58:59]
	v_add_f64 v[66:67], v[66:67], v[68:69]
	v_fmac_f64_e32 v[46:47], s[4:5], v[58:59]
	v_fmac_f64_e32 v[74:75], s[10:11], v[66:67]
	;; [unrolled: 1-line block ×3, first 2 shown]
	v_add_f64 v[66:67], v[24:25], v[50:51]
	v_fmac_f64_e32 v[10:11], -0.5, v[66:67]
	v_fma_f64 v[66:67], s[12:13], v[58:59], v[10:11]
	v_add_f64 v[24:25], v[26:27], -v[24:25]
	v_add_f64 v[26:27], v[48:49], -v[50:51]
	v_fmac_f64_e32 v[10:11], s[14:15], v[58:59]
	v_fmac_f64_e32 v[66:67], s[16:17], v[56:57]
	v_add_f64 v[24:25], v[24:25], v[26:27]
	v_fmac_f64_e32 v[10:11], s[4:5], v[56:57]
	v_fmac_f64_e32 v[66:67], s[10:11], v[24:25]
	v_fmac_f64_e32 v[10:11], s[10:11], v[24:25]
	v_add_f64 v[24:25], v[0:1], v[36:37]
	v_mul_f64 v[42:43], v[134:135], v[228:229]
	v_add_f64 v[24:25], v[24:25], v[38:39]
	v_fmac_f64_e32 v[42:43], v[132:133], v[226:227]
	v_mul_f64 v[34:35], v[132:133], v[228:229]
	v_add_f64 v[24:25], v[24:25], v[40:41]
	v_fma_f64 v[34:35], v[134:135], v[226:227], -v[34:35]
	v_add_f64 v[68:69], v[24:25], v[42:43]
	v_add_f64 v[24:25], v[38:39], v[40:41]
	v_fma_f64 v[24:25], -0.5, v[24:25], v[0:1]
	v_add_f64 v[26:27], v[28:29], -v[34:35]
	v_fma_f64 v[56:57], s[12:13], v[26:27], v[24:25]
	v_add_f64 v[50:51], v[30:31], -v[32:33]
	v_add_f64 v[48:49], v[36:37], -v[38:39]
	;; [unrolled: 1-line block ×3, first 2 shown]
	v_fmac_f64_e32 v[24:25], s[14:15], v[26:27]
	v_fmac_f64_e32 v[56:57], s[4:5], v[50:51]
	v_add_f64 v[48:49], v[48:49], v[58:59]
	v_fmac_f64_e32 v[24:25], s[16:17], v[50:51]
	v_fmac_f64_e32 v[56:57], s[10:11], v[48:49]
	;; [unrolled: 1-line block ×3, first 2 shown]
	v_add_f64 v[48:49], v[36:37], v[42:43]
	v_fmac_f64_e32 v[0:1], -0.5, v[48:49]
	v_fma_f64 v[48:49], s[14:15], v[50:51], v[0:1]
	v_fmac_f64_e32 v[0:1], s[12:13], v[50:51]
	v_fmac_f64_e32 v[48:49], s[4:5], v[26:27]
	;; [unrolled: 1-line block ×3, first 2 shown]
	v_add_f64 v[26:27], v[2:3], v[28:29]
	v_add_f64 v[26:27], v[26:27], v[30:31]
	v_add_f64 v[58:59], v[38:39], -v[36:37]
	v_add_f64 v[70:71], v[40:41], -v[42:43]
	v_add_f64 v[26:27], v[26:27], v[32:33]
	v_add_f64 v[58:59], v[58:59], v[70:71]
	;; [unrolled: 1-line block ×4, first 2 shown]
	v_fma_f64 v[26:27], -0.5, v[26:27], v[2:3]
	v_add_f64 v[36:37], v[36:37], -v[42:43]
	v_fmac_f64_e32 v[48:49], s[10:11], v[58:59]
	v_fmac_f64_e32 v[0:1], s[10:11], v[58:59]
	v_fma_f64 v[58:59], s[14:15], v[36:37], v[26:27]
	v_add_f64 v[38:39], v[38:39], -v[40:41]
	v_add_f64 v[40:41], v[28:29], -v[30:31]
	;; [unrolled: 1-line block ×3, first 2 shown]
	v_fmac_f64_e32 v[26:27], s[12:13], v[36:37]
	v_fmac_f64_e32 v[58:59], s[16:17], v[38:39]
	v_add_f64 v[40:41], v[40:41], v[42:43]
	v_fmac_f64_e32 v[26:27], s[4:5], v[38:39]
	v_fmac_f64_e32 v[58:59], s[10:11], v[40:41]
	;; [unrolled: 1-line block ×3, first 2 shown]
	v_add_f64 v[40:41], v[28:29], v[34:35]
	v_fmac_f64_e32 v[2:3], -0.5, v[40:41]
	v_fma_f64 v[50:51], s[12:13], v[38:39], v[2:3]
	v_add_f64 v[28:29], v[30:31], -v[28:29]
	v_add_f64 v[30:31], v[32:33], -v[34:35]
	v_fmac_f64_e32 v[2:3], s[14:15], v[38:39]
	v_fmac_f64_e32 v[50:51], s[16:17], v[36:37]
	v_add_f64 v[28:29], v[28:29], v[30:31]
	v_fmac_f64_e32 v[2:3], s[4:5], v[36:37]
	v_mul_f64 v[132:133], v[138:139], v[254:255]
	v_fmac_f64_e32 v[50:51], s[10:11], v[28:29]
	v_fmac_f64_e32 v[2:3], s[10:11], v[28:29]
	v_add_f64 v[28:29], v[12:13], v[124:125]
	v_fmac_f64_e32 v[132:133], v[136:137], v[252:253]
	v_mul_f64 v[134:135], v[192:193], v[250:251]
	v_add_f64 v[28:29], v[28:29], v[128:129]
	v_fmac_f64_e32 v[134:135], v[190:191], v[248:249]
	v_add_f64 v[28:29], v[28:29], v[132:133]
	v_add_f64 v[36:37], v[28:29], v[134:135]
	;; [unrolled: 1-line block ×3, first 2 shown]
	v_fma_f64 v[28:29], -0.5, v[28:29], v[12:13]
	v_add_f64 v[30:31], v[120:121], -v[130:131]
	v_fma_f64 v[32:33], s[12:13], v[30:31], v[28:29]
	v_add_f64 v[34:35], v[122:123], -v[126:127]
	v_add_f64 v[38:39], v[124:125], -v[128:129]
	;; [unrolled: 1-line block ×3, first 2 shown]
	v_fmac_f64_e32 v[28:29], s[14:15], v[30:31]
	v_fmac_f64_e32 v[32:33], s[4:5], v[34:35]
	v_add_f64 v[38:39], v[38:39], v[40:41]
	v_fmac_f64_e32 v[28:29], s[16:17], v[34:35]
	v_fmac_f64_e32 v[32:33], s[10:11], v[38:39]
	;; [unrolled: 1-line block ×3, first 2 shown]
	v_add_f64 v[38:39], v[124:125], v[134:135]
	v_fmac_f64_e32 v[12:13], -0.5, v[38:39]
	v_fma_f64 v[40:41], s[14:15], v[34:35], v[12:13]
	v_fmac_f64_e32 v[12:13], s[12:13], v[34:35]
	v_fmac_f64_e32 v[40:41], s[4:5], v[30:31]
	v_fmac_f64_e32 v[12:13], s[16:17], v[30:31]
	v_add_f64 v[30:31], v[14:15], v[120:121]
	v_add_f64 v[38:39], v[128:129], -v[124:125]
	v_add_f64 v[42:43], v[132:133], -v[134:135]
	v_add_f64 v[30:31], v[30:31], v[122:123]
	v_add_f64 v[38:39], v[38:39], v[42:43]
	;; [unrolled: 1-line block ×3, first 2 shown]
	v_fmac_f64_e32 v[40:41], s[10:11], v[38:39]
	v_fmac_f64_e32 v[12:13], s[10:11], v[38:39]
	v_add_f64 v[38:39], v[30:31], v[130:131]
	v_add_f64 v[30:31], v[122:123], v[126:127]
	v_fma_f64 v[30:31], -0.5, v[30:31], v[14:15]
	v_add_f64 v[124:125], v[124:125], -v[134:135]
	v_fma_f64 v[34:35], s[14:15], v[124:125], v[30:31]
	v_add_f64 v[128:129], v[128:129], -v[132:133]
	v_add_f64 v[42:43], v[120:121], -v[122:123]
	;; [unrolled: 1-line block ×3, first 2 shown]
	v_fmac_f64_e32 v[30:31], s[12:13], v[124:125]
	v_fmac_f64_e32 v[34:35], s[16:17], v[128:129]
	v_add_f64 v[42:43], v[42:43], v[132:133]
	v_fmac_f64_e32 v[30:31], s[4:5], v[128:129]
	v_fmac_f64_e32 v[34:35], s[10:11], v[42:43]
	;; [unrolled: 1-line block ×3, first 2 shown]
	v_add_f64 v[42:43], v[120:121], v[130:131]
	v_fmac_f64_e32 v[14:15], -0.5, v[42:43]
	v_fma_f64 v[42:43], s[12:13], v[128:129], v[14:15]
	v_add_f64 v[120:121], v[122:123], -v[120:121]
	v_add_f64 v[122:123], v[126:127], -v[130:131]
	v_fmac_f64_e32 v[14:15], s[14:15], v[128:129]
	v_fmac_f64_e32 v[42:43], s[16:17], v[124:125]
	v_add_f64 v[120:121], v[120:121], v[122:123]
	v_fmac_f64_e32 v[14:15], s[4:5], v[124:125]
	v_fmac_f64_e32 v[42:43], s[10:11], v[120:121]
	;; [unrolled: 1-line block ×3, first 2 shown]
	v_mul_u32_u24_e32 v120, 0x4b0, v220
	v_lshlrev_b32_sdwa v121, v242, v221 dst_sel:DWORD dst_unused:UNUSED_PAD src0_sel:DWORD src1_sel:BYTE_0
	v_add3_u32 v120, 0, v120, v121
	s_barrier
	ds_write_b128 v120, v[116:119]
	ds_write_b128 v120, v[84:87] offset:240
	ds_write_b128 v120, v[76:79] offset:480
	;; [unrolled: 1-line block ×4, first 2 shown]
	v_mul_u32_u24_e32 v20, 0x4b0, v207
	v_lshlrev_b32_sdwa v21, v242, v243 dst_sel:DWORD dst_unused:UNUSED_PAD src0_sel:DWORD src1_sel:BYTE_0
	v_add3_u32 v20, 0, v20, v21
	ds_write_b128 v20, v[112:115]
	ds_write_b128 v20, v[108:111] offset:240
	ds_write_b128 v20, v[100:103] offset:480
	ds_write_b128 v20, v[16:19] offset:720
	ds_write_b128 v20, v[80:83] offset:960
	v_mul_u32_u24_e32 v16, 0x4b0, v203
	v_lshlrev_b32_e32 v17, 4, v215
	v_add3_u32 v16, 0, v16, v17
	ds_write_b128 v16, v[104:107]
	ds_write_b128 v16, v[96:99] offset:240
	ds_write_b128 v16, v[88:91] offset:480
	ds_write_b128 v16, v[4:7] offset:720
	ds_write_b128 v16, v[60:63] offset:960
	v_mul_u32_u24_e32 v4, 0x4b0, v194
	v_lshlrev_b32_e32 v5, 4, v195
	;; [unrolled: 8-line block ×4, first 2 shown]
	v_add3_u32 v0, 0, v0, v1
	s_movk_i32 s18, 0x4b
	ds_write_b128 v0, v[36:39]
	ds_write_b128 v0, v[32:35] offset:240
	ds_write_b128 v0, v[40:43] offset:480
	;; [unrolled: 1-line block ×4, first 2 shown]
	v_add_u32_e32 v0, 0xffffffb5, v202
	v_cmp_gt_u32_e32 vcc, s18, v202
	v_mov_b32_e32 v221, 0
	s_waitcnt lgkmcnt(0)
	v_cndmask_b32_e32 v203, v0, v202, vcc
	v_mul_i32_i24_e32 v220, 9, v203
	v_lshl_add_u64 v[40:41], v[220:221], 4, s[8:9]
	s_barrier
	global_load_dwordx4 v[116:119], v[40:41], off offset:1152
	global_load_dwordx4 v[100:103], v[40:41], off offset:1168
	;; [unrolled: 1-line block ×4, first 2 shown]
	v_accvgpr_read_b32 v0, a0
	v_lshl_add_u32 v0, v0, 4, 0
	s_movk_i32 s18, 0xdb
	ds_read_b128 v[112:115], v219
	ds_read_b128 v[108:111], v0
	global_load_dwordx4 v[56:59], v[40:41], off offset:1232
	global_load_dwordx4 v[76:79], v[40:41], off offset:1216
	v_mul_lo_u16_sdwa v42, v206, s18 dst_sel:DWORD dst_unused:UNUSED_PAD src0_sel:BYTE_0 src1_sel:DWORD
	v_lshrrev_b16_e32 v207, 14, v42
	s_mov_b32 s18, 0xb4e9
	ds_read_b128 v[88:91], v238 offset:24000
	ds_read_b128 v[24:27], v238 offset:26000
	ds_read_b128 v[4:7], v213
	ds_read_b128 v[20:23], v238 offset:32000
	ds_read_b128 v[44:47], v238 offset:42000
	;; [unrolled: 1-line block ×5, first 2 shown]
	global_load_dwordx4 v[48:51], v[40:41], off offset:1264
	global_load_dwordx4 v[52:55], v[40:41], off offset:1248
	v_mul_lo_u16_e32 v42, 0x4b, v207
	v_mul_u32_u24_sdwa v192, v218, s18 dst_sel:DWORD dst_unused:UNUSED_PAD src0_sel:WORD_0 src1_sel:DWORD
	v_accvgpr_write_b32 a7, v0
	ds_read_b128 v[156:159], v241
	ds_read_b128 v[0:3], v239
	ds_read_b128 v[36:39], v238 offset:8000
	ds_read_b128 v[12:15], v238 offset:10000
	v_sub_u16_e32 v220, v206, v42
	global_load_dwordx4 v[104:107], v[40:41], off offset:1280
	v_mov_b32_e32 v40, 9
	v_sub_u16_sdwa v193, v218, v192 dst_sel:DWORD dst_unused:UNUSED_PAD src0_sel:DWORD src1_sel:WORD_1
	v_mul_u32_u24_sdwa v40, v220, v40 dst_sel:DWORD dst_unused:UNUSED_PAD src0_sel:BYTE_0 src1_sel:DWORD
	v_lshrrev_b16_e32 v193, 1, v193
	v_lshlrev_b32_e32 v188, 4, v40
	v_add_u16_sdwa v192, v193, v192 dst_sel:DWORD dst_unused:UNUSED_PAD src0_sel:DWORD src1_sel:WORD_1
	global_load_dwordx4 v[144:147], v188, s[8:9] offset:1152
	v_lshrrev_b16_e32 v215, 6, v192
	ds_read_b128 v[128:131], v238 offset:14000
	ds_read_b128 v[80:83], v238 offset:16000
	global_load_dwordx4 v[124:127], v188, s[8:9] offset:1184
	global_load_dwordx4 v[140:143], v188, s[8:9] offset:1168
	v_mul_lo_u16_e32 v192, 0x4b, v215
	v_sub_u16_e32 v243, v218, v192
	ds_read_b128 v[132:135], v238 offset:20000
	ds_read_b128 v[84:87], v238 offset:22000
	;; [unrolled: 1-line block ×6, first 2 shown]
	global_load_dwordx4 v[136:139], v188, s[8:9] offset:1200
	ds_read_b128 v[120:123], v238 offset:38000
	ds_read_b128 v[64:67], v238 offset:40000
	;; [unrolled: 1-line block ×4, first 2 shown]
	global_load_dwordx4 v[184:187], v188, s[8:9] offset:1216
	ds_read_b128 v[160:163], v238 offset:50000
	ds_read_b128 v[152:155], v238 offset:52000
	global_load_dwordx4 v[176:179], v188, s[8:9] offset:1248
	global_load_dwordx4 v[180:183], v188, s[8:9] offset:1232
	ds_read_b128 v[40:43], v238
	ds_read_b128 v[96:99], v238 offset:58000
	global_load_dwordx4 v[172:175], v188, s[8:9] offset:1264
	s_nop 0
	global_load_dwordx4 v[188:191], v188, s[8:9] offset:1280
	v_mul_u32_u24_e32 v192, 9, v243
	v_lshlrev_b32_e32 v244, 4, v192
	global_load_dwordx4 v[192:195], v244, s[8:9] offset:1168
	global_load_dwordx4 v[196:199], v244, s[8:9] offset:1152
	s_mov_b32 s18, s22
	s_waitcnt vmcnt(19) lgkmcnt(14)
	v_mul_f64 v[222:223], v[158:159], v[118:119]
	v_mul_f64 v[118:119], v[156:157], v[118:119]
	v_fmac_f64_e32 v[222:223], v[156:157], v[116:117]
	v_fma_f64 v[224:225], v[158:159], v[116:117], -v[118:119]
	global_load_dwordx4 v[116:119], v244, s[8:9] offset:1200
	global_load_dwordx4 v[156:159], v244, s[8:9] offset:1184
	s_waitcnt vmcnt(20)
	v_mul_f64 v[232:233], v[114:115], v[102:103]
	s_waitcnt vmcnt(19)
	v_mul_f64 v[228:229], v[110:111], v[94:95]
	v_mul_f64 v[94:95], v[108:109], v[94:95]
	v_fmac_f64_e32 v[232:233], v[112:113], v[100:101]
	v_mul_f64 v[102:103], v[112:113], v[102:103]
	v_fma_f64 v[226:227], v[110:111], v[92:93], -v[94:95]
	global_load_dwordx4 v[110:113], v244, s[8:9] offset:1232
	global_load_dwordx4 v[208:211], v244, s[8:9] offset:1216
	;; [unrolled: 1-line block ×4, first 2 shown]
	s_waitcnt vmcnt(22)
	v_mul_f64 v[236:237], v[90:91], v[34:35]
	global_load_dwordx4 v[244:247], v244, s[8:9] offset:1280
	v_mul_f64 v[34:35], v[88:89], v[34:35]
	v_fma_f64 v[234:235], v[90:91], v[32:33], -v[34:35]
	s_waitcnt vmcnt(21) lgkmcnt(11)
	v_mul_f64 v[34:35], v[170:171], v[78:79]
	v_fmac_f64_e32 v[236:237], v[88:89], v[32:33]
	v_fmac_f64_e32 v[34:35], v[168:169], v[76:77]
	v_mul_f64 v[32:33], v[168:169], v[78:79]
	s_waitcnt lgkmcnt(9)
	v_mul_f64 v[168:169], v[166:167], v[58:59]
	v_fmac_f64_e32 v[168:169], v[164:165], v[56:57]
	v_mul_f64 v[58:59], v[164:165], v[58:59]
	s_waitcnt vmcnt(19)
	v_mul_f64 v[164:165], v[46:47], v[54:55]
	v_fma_f64 v[32:33], v[170:171], v[76:77], -v[32:33]
	v_fmac_f64_e32 v[164:165], v[44:45], v[52:53]
	v_mul_f64 v[44:45], v[44:45], v[54:55]
	s_waitcnt lgkmcnt(5)
	v_mul_f64 v[170:171], v[150:151], v[50:51]
	v_fma_f64 v[44:45], v[46:47], v[52:53], -v[44:45]
	v_fmac_f64_e32 v[170:171], v[148:149], v[48:49]
	v_mul_f64 v[46:47], v[148:149], v[50:51]
	s_waitcnt vmcnt(18)
	v_mul_f64 v[148:149], v[30:31], v[106:107]
	v_fmac_f64_e32 v[148:149], v[28:29], v[104:105]
	v_mul_f64 v[28:29], v[28:29], v[106:107]
	v_fma_f64 v[28:29], v[30:31], v[104:105], -v[28:29]
	s_waitcnt vmcnt(17)
	v_mul_f64 v[76:77], v[38:39], v[146:147]
	v_mul_f64 v[30:31], v[36:37], v[146:147]
	v_fmac_f64_e32 v[76:77], v[36:37], v[144:145]
	v_fma_f64 v[78:79], v[38:39], v[144:145], -v[30:31]
	s_waitcnt vmcnt(15)
	v_mul_f64 v[144:145], v[130:131], v[142:143]
	v_mul_f64 v[30:31], v[128:129], v[142:143]
	v_fma_f64 v[166:167], v[166:167], v[56:57], -v[58:59]
	v_fmac_f64_e32 v[144:145], v[128:129], v[140:141]
	v_fma_f64 v[128:129], v[130:131], v[140:141], -v[30:31]
	v_mul_f64 v[56:57], v[134:135], v[126:127]
	v_mul_f64 v[30:31], v[132:133], v[126:127]
	v_fma_f64 v[150:151], v[150:151], v[48:49], -v[46:47]
	v_fmac_f64_e32 v[56:57], v[132:133], v[124:125]
	v_fma_f64 v[48:49], v[134:135], v[124:125], -v[30:31]
	s_waitcnt vmcnt(9)
	v_mul_f64 v[124:125], v[10:11], v[190:191]
	v_fmac_f64_e32 v[124:125], v[8:9], v[188:189]
	v_mul_f64 v[8:9], v[8:9], v[190:191]
	v_fma_f64 v[54:55], v[10:11], v[188:189], -v[8:9]
	s_waitcnt vmcnt(7)
	v_mul_f64 v[8:9], v[12:13], v[198:199]
	v_mul_f64 v[134:135], v[26:27], v[138:139]
	v_fma_f64 v[104:105], v[14:15], v[196:197], -v[8:9]
	v_mul_f64 v[8:9], v[80:81], v[194:195]
	v_fmac_f64_e32 v[134:135], v[24:25], v[136:137]
	v_mul_f64 v[24:25], v[24:25], v[138:139]
	v_mul_f64 v[58:59], v[22:23], v[186:187]
	v_fma_f64 v[106:107], v[82:83], v[192:193], -v[8:9]
	v_fma_f64 v[126:127], v[26:27], v[136:137], -v[24:25]
	v_fmac_f64_e32 v[58:59], v[20:21], v[184:185]
	v_mul_f64 v[20:21], v[20:21], v[186:187]
	v_mul_f64 v[136:137], v[122:123], v[182:183]
	v_fmac_f64_e32 v[228:229], v[108:109], v[92:93]
	v_fma_f64 v[50:51], v[22:23], v[184:185], -v[20:21]
	v_fmac_f64_e32 v[136:137], v[120:121], v[180:181]
	v_mul_f64 v[20:21], v[120:121], v[182:183]
	v_fma_f64 v[230:231], v[114:115], v[100:101], -v[102:103]
	v_mul_f64 v[102:103], v[14:15], v[198:199]
	v_fmac_f64_e32 v[102:103], v[12:13], v[196:197]
	v_add_f64 v[10:11], v[234:235], -v[166:167]
	v_add_f64 v[12:13], v[232:233], -v[236:237]
	;; [unrolled: 1-line block ×3, first 2 shown]
	v_add_f64 v[12:13], v[12:13], v[14:15]
	v_add_f64 v[14:15], v[168:169], -v[170:171]
	v_fma_f64 v[130:131], v[122:123], v[180:181], -v[20:21]
	v_mul_f64 v[122:123], v[18:19], v[178:179]
	v_fmac_f64_e32 v[122:123], v[16:17], v[176:177]
	v_mul_f64 v[16:17], v[16:17], v[178:179]
	v_fma_f64 v[52:53], v[18:19], v[176:177], -v[16:17]
	s_waitcnt vmcnt(6)
	v_mul_f64 v[120:121], v[74:75], v[118:119]
	s_waitcnt vmcnt(5)
	v_mul_f64 v[90:91], v[86:87], v[158:159]
	v_mul_f64 v[8:9], v[84:85], v[158:159]
	v_fmac_f64_e32 v[90:91], v[84:85], v[156:157]
	v_fma_f64 v[84:85], v[86:87], v[156:157], -v[8:9]
	v_mul_f64 v[8:9], v[72:73], v[118:119]
	v_fma_f64 v[108:109], v[74:75], v[116:117], -v[8:9]
	v_fmac_f64_e32 v[120:121], v[72:73], v[116:117]
	s_waitcnt vmcnt(3)
	v_mul_f64 v[8:9], v[68:69], v[210:211]
	v_fma_f64 v[86:87], v[70:71], v[208:209], -v[8:9]
	v_mul_f64 v[116:117], v[66:67], v[112:113]
	v_mul_f64 v[8:9], v[64:65], v[112:113]
	v_fmac_f64_e32 v[116:117], v[64:65], v[110:111]
	v_fma_f64 v[110:111], v[66:67], v[110:111], -v[8:9]
	s_waitcnt vmcnt(1) lgkmcnt(4)
	v_mul_f64 v[8:9], v[60:61], v[254:255]
	v_fma_f64 v[88:89], v[62:63], v[252:253], -v[8:9]
	s_waitcnt lgkmcnt(2)
	v_mul_f64 v[8:9], v[152:153], v[250:251]
	v_fma_f64 v[112:113], v[154:155], v[248:249], -v[8:9]
	s_waitcnt vmcnt(0) lgkmcnt(0)
	v_mul_f64 v[100:101], v[98:99], v[246:247]
	v_mul_f64 v[8:9], v[96:97], v[246:247]
	v_fmac_f64_e32 v[100:101], v[96:97], v[244:245]
	v_fma_f64 v[96:97], v[98:99], v[244:245], -v[8:9]
	v_add_f64 v[8:9], v[40:41], v[232:233]
	v_add_f64 v[8:9], v[8:9], v[236:237]
	;; [unrolled: 1-line block ×5, first 2 shown]
	v_fma_f64 v[30:31], -0.5, v[8:9], v[40:41]
	v_add_f64 v[8:9], v[230:231], -v[150:151]
	v_fma_f64 v[38:39], s[12:13], v[8:9], v[30:31]
	v_fmac_f64_e32 v[30:31], s[14:15], v[8:9]
	v_fmac_f64_e32 v[38:39], s[4:5], v[10:11]
	;; [unrolled: 1-line block ×5, first 2 shown]
	v_add_f64 v[12:13], v[232:233], v[170:171]
	v_fmac_f64_e32 v[40:41], -0.5, v[12:13]
	v_mul_f64 v[94:95], v[62:63], v[254:255]
	v_fma_f64 v[62:63], s[14:15], v[10:11], v[40:41]
	v_fmac_f64_e32 v[40:41], s[12:13], v[10:11]
	v_fmac_f64_e32 v[62:63], s[4:5], v[8:9]
	;; [unrolled: 1-line block ×3, first 2 shown]
	v_add_f64 v[8:9], v[42:43], v[230:231]
	v_add_f64 v[8:9], v[8:9], v[234:235]
	;; [unrolled: 1-line block ×3, first 2 shown]
	v_add_f64 v[12:13], v[236:237], -v[232:233]
	v_add_f64 v[46:47], v[8:9], v[150:151]
	v_add_f64 v[8:9], v[234:235], v[166:167]
	v_fmac_f64_e32 v[94:95], v[60:61], v[252:253]
	v_add_f64 v[12:13], v[12:13], v[14:15]
	v_fma_f64 v[60:61], -0.5, v[8:9], v[42:43]
	v_add_f64 v[8:9], v[232:233], -v[170:171]
	v_fmac_f64_e32 v[62:63], s[10:11], v[12:13]
	v_fmac_f64_e32 v[40:41], s[10:11], v[12:13]
	v_fma_f64 v[64:65], s[14:15], v[8:9], v[60:61]
	v_add_f64 v[10:11], v[236:237], -v[168:169]
	v_add_f64 v[12:13], v[230:231], -v[234:235]
	;; [unrolled: 1-line block ×3, first 2 shown]
	v_fmac_f64_e32 v[60:61], s[12:13], v[8:9]
	v_fmac_f64_e32 v[64:65], s[16:17], v[10:11]
	v_add_f64 v[12:13], v[12:13], v[14:15]
	v_fmac_f64_e32 v[60:61], s[4:5], v[10:11]
	v_fmac_f64_e32 v[64:65], s[10:11], v[12:13]
	;; [unrolled: 1-line block ×3, first 2 shown]
	v_add_f64 v[12:13], v[230:231], v[150:151]
	v_fmac_f64_e32 v[42:43], -0.5, v[12:13]
	v_fma_f64 v[66:67], s[12:13], v[10:11], v[42:43]
	v_fmac_f64_e32 v[42:43], s[14:15], v[10:11]
	v_fmac_f64_e32 v[66:67], s[16:17], v[8:9]
	v_fmac_f64_e32 v[42:43], s[4:5], v[8:9]
	v_add_f64 v[8:9], v[222:223], v[228:229]
	v_add_f64 v[8:9], v[8:9], v[34:35]
	v_mul_f64 v[92:93], v[70:71], v[210:211]
	v_add_f64 v[8:9], v[8:9], v[164:165]
	v_fmac_f64_e32 v[92:93], v[68:69], v[208:209]
	v_add_f64 v[12:13], v[234:235], -v[230:231]
	v_add_f64 v[14:15], v[166:167], -v[150:151]
	v_add_f64 v[68:69], v[8:9], v[148:149]
	v_add_f64 v[8:9], v[34:35], v[164:165]
	v_mul_f64 v[16:17], v[160:161], v[174:175]
	v_add_f64 v[12:13], v[12:13], v[14:15]
	v_fma_f64 v[22:23], -0.5, v[8:9], v[222:223]
	v_add_f64 v[8:9], v[226:227], -v[28:29]
	v_fma_f64 v[132:133], v[162:163], v[172:173], -v[16:17]
	v_fmac_f64_e32 v[66:67], s[10:11], v[12:13]
	v_fmac_f64_e32 v[42:43], s[10:11], v[12:13]
	v_fma_f64 v[10:11], s[12:13], v[8:9], v[22:23]
	v_add_f64 v[12:13], v[32:33], -v[44:45]
	v_add_f64 v[14:15], v[228:229], -v[34:35]
	;; [unrolled: 1-line block ×3, first 2 shown]
	v_fmac_f64_e32 v[22:23], s[14:15], v[8:9]
	v_fmac_f64_e32 v[10:11], s[4:5], v[12:13]
	v_add_f64 v[14:15], v[14:15], v[16:17]
	v_fmac_f64_e32 v[22:23], s[16:17], v[12:13]
	v_fmac_f64_e32 v[10:11], s[10:11], v[14:15]
	v_fmac_f64_e32 v[22:23], s[10:11], v[14:15]
	v_add_f64 v[14:15], v[228:229], v[148:149]
	v_fmac_f64_e32 v[222:223], -0.5, v[14:15]
	v_fma_f64 v[26:27], s[14:15], v[12:13], v[222:223]
	v_fmac_f64_e32 v[222:223], s[12:13], v[12:13]
	v_fmac_f64_e32 v[26:27], s[4:5], v[8:9]
	v_fmac_f64_e32 v[222:223], s[16:17], v[8:9]
	v_add_f64 v[8:9], v[224:225], v[226:227]
	v_add_f64 v[8:9], v[8:9], v[32:33]
	;; [unrolled: 1-line block ×3, first 2 shown]
	v_add_f64 v[14:15], v[34:35], -v[228:229]
	v_add_f64 v[16:17], v[164:165], -v[148:149]
	v_add_f64 v[70:71], v[8:9], v[28:29]
	v_add_f64 v[8:9], v[32:33], v[44:45]
	;; [unrolled: 1-line block ×3, first 2 shown]
	v_fma_f64 v[72:73], -0.5, v[8:9], v[224:225]
	v_add_f64 v[8:9], v[228:229], -v[148:149]
	v_fmac_f64_e32 v[26:27], s[10:11], v[14:15]
	v_fmac_f64_e32 v[222:223], s[10:11], v[14:15]
	v_fma_f64 v[14:15], s[14:15], v[8:9], v[72:73]
	v_add_f64 v[12:13], v[34:35], -v[164:165]
	v_add_f64 v[16:17], v[226:227], -v[32:33]
	v_add_f64 v[18:19], v[28:29], -v[44:45]
	v_fmac_f64_e32 v[72:73], s[12:13], v[8:9]
	v_fmac_f64_e32 v[14:15], s[16:17], v[12:13]
	v_add_f64 v[16:17], v[16:17], v[18:19]
	v_fmac_f64_e32 v[72:73], s[4:5], v[12:13]
	v_fmac_f64_e32 v[14:15], s[10:11], v[16:17]
	;; [unrolled: 1-line block ×3, first 2 shown]
	v_add_f64 v[16:17], v[226:227], v[28:29]
	v_fmac_f64_e32 v[224:225], -0.5, v[16:17]
	v_fma_f64 v[34:35], s[12:13], v[12:13], v[224:225]
	v_add_f64 v[16:17], v[32:33], -v[226:227]
	v_add_f64 v[18:19], v[44:45], -v[28:29]
	v_fmac_f64_e32 v[224:225], s[14:15], v[12:13]
	v_add_f64 v[16:17], v[16:17], v[18:19]
	v_fmac_f64_e32 v[224:225], s[4:5], v[8:9]
	v_mul_f64 v[114:115], v[82:83], v[194:195]
	v_fmac_f64_e32 v[34:35], s[16:17], v[8:9]
	v_fmac_f64_e32 v[224:225], s[10:11], v[16:17]
	;; [unrolled: 1-line block ×4, first 2 shown]
	v_mul_f64 v[28:29], v[14:15], s[4:5]
	v_mul_f64 v[80:81], v[72:73], s[4:5]
	;; [unrolled: 1-line block ×4, first 2 shown]
	v_fmac_f64_e32 v[28:29], s[22:23], v[10:11]
	v_mul_f64 v[44:45], v[34:35], s[12:13]
	v_mul_f64 v[98:99], v[34:35], s[10:11]
	v_fmac_f64_e32 v[140:141], s[14:15], v[222:223]
	v_fmac_f64_e32 v[72:73], s[16:17], v[22:23]
	v_add_f64 v[12:13], v[38:39], v[28:29]
	v_fmac_f64_e32 v[44:45], s[10:11], v[26:27]
	v_fmac_f64_e32 v[80:81], s[18:19], v[22:23]
	v_add_f64 v[18:19], v[46:47], v[70:71]
	v_fmac_f64_e32 v[98:99], s[14:15], v[26:27]
	v_add_f64 v[26:27], v[42:43], v[140:141]
	v_add_f64 v[22:23], v[60:61], v[72:73]
	v_add_f64 v[32:33], v[38:39], -v[28:29]
	v_add_f64 v[38:39], v[46:47], -v[70:71]
	;; [unrolled: 1-line block ×4, first 2 shown]
	v_add_f64 v[60:61], v[4:5], v[144:145]
	v_mul_f64 v[138:139], v[162:163], v[174:175]
	v_add_f64 v[60:61], v[60:61], v[134:135]
	v_fmac_f64_e32 v[138:139], v[160:161], v[172:173]
	v_add_f64 v[60:61], v[60:61], v[136:137]
	v_add_f64 v[16:17], v[36:37], v[68:69]
	v_mul_f64 v[74:75], v[224:225], s[12:13]
	v_mul_f64 v[82:83], v[14:15], s[22:23]
	v_add_f64 v[36:37], v[36:37], -v[68:69]
	v_add_f64 v[68:69], v[60:61], v[138:139]
	v_add_f64 v[60:61], v[134:135], v[136:137]
	v_fmac_f64_e32 v[74:75], s[20:21], v[222:223]
	v_fmac_f64_e32 v[82:83], s[16:17], v[10:11]
	v_fma_f64 v[70:71], -0.5, v[60:61], v[4:5]
	v_add_f64 v[60:61], v[128:129], -v[132:133]
	v_add_f64 v[8:9], v[62:63], v[44:45]
	v_add_f64 v[24:25], v[40:41], v[74:75]
	;; [unrolled: 1-line block ×5, first 2 shown]
	v_add_f64 v[28:29], v[62:63], -v[44:45]
	v_add_f64 v[44:45], v[40:41], -v[74:75]
	;; [unrolled: 1-line block ×5, first 2 shown]
	v_fma_f64 v[72:73], s[12:13], v[60:61], v[70:71]
	v_add_f64 v[62:63], v[126:127], -v[130:131]
	v_add_f64 v[64:65], v[144:145], -v[134:135]
	;; [unrolled: 1-line block ×3, first 2 shown]
	v_fmac_f64_e32 v[70:71], s[14:15], v[60:61]
	v_fmac_f64_e32 v[72:73], s[4:5], v[62:63]
	v_add_f64 v[64:65], v[64:65], v[66:67]
	v_fmac_f64_e32 v[70:71], s[16:17], v[62:63]
	v_fmac_f64_e32 v[72:73], s[10:11], v[64:65]
	;; [unrolled: 1-line block ×3, first 2 shown]
	v_add_f64 v[64:65], v[144:145], v[138:139]
	v_fmac_f64_e32 v[4:5], -0.5, v[64:65]
	v_fma_f64 v[80:81], s[14:15], v[62:63], v[4:5]
	v_fmac_f64_e32 v[4:5], s[12:13], v[62:63]
	v_fmac_f64_e32 v[80:81], s[4:5], v[60:61]
	;; [unrolled: 1-line block ×3, first 2 shown]
	v_add_f64 v[60:61], v[6:7], v[128:129]
	v_add_f64 v[60:61], v[60:61], v[126:127]
	;; [unrolled: 1-line block ×3, first 2 shown]
	v_add_f64 v[64:65], v[134:135], -v[144:145]
	v_add_f64 v[66:67], v[136:137], -v[138:139]
	v_add_f64 v[74:75], v[60:61], v[132:133]
	v_add_f64 v[60:61], v[126:127], v[130:131]
	;; [unrolled: 1-line block ×3, first 2 shown]
	v_fma_f64 v[98:99], -0.5, v[60:61], v[6:7]
	v_add_f64 v[60:61], v[144:145], -v[138:139]
	v_fmac_f64_e32 v[80:81], s[10:11], v[64:65]
	v_fmac_f64_e32 v[4:5], s[10:11], v[64:65]
	v_fma_f64 v[82:83], s[14:15], v[60:61], v[98:99]
	v_add_f64 v[62:63], v[134:135], -v[136:137]
	v_add_f64 v[64:65], v[128:129], -v[126:127]
	;; [unrolled: 1-line block ×3, first 2 shown]
	v_fmac_f64_e32 v[98:99], s[12:13], v[60:61]
	v_fmac_f64_e32 v[82:83], s[16:17], v[62:63]
	v_add_f64 v[64:65], v[64:65], v[66:67]
	v_fmac_f64_e32 v[98:99], s[4:5], v[62:63]
	v_fmac_f64_e32 v[82:83], s[10:11], v[64:65]
	;; [unrolled: 1-line block ×3, first 2 shown]
	v_add_f64 v[64:65], v[128:129], v[132:133]
	v_fmac_f64_e32 v[6:7], -0.5, v[64:65]
	v_fma_f64 v[134:135], s[12:13], v[62:63], v[6:7]
	v_fmac_f64_e32 v[6:7], s[14:15], v[62:63]
	v_fmac_f64_e32 v[134:135], s[16:17], v[60:61]
	;; [unrolled: 1-line block ×3, first 2 shown]
	v_add_f64 v[60:61], v[76:77], v[56:57]
	v_add_f64 v[60:61], v[60:61], v[58:59]
	;; [unrolled: 1-line block ×3, first 2 shown]
	v_add_f64 v[64:65], v[126:127], -v[128:129]
	v_add_f64 v[66:67], v[130:131], -v[132:133]
	v_add_f64 v[126:127], v[60:61], v[124:125]
	v_add_f64 v[60:61], v[58:59], v[122:123]
	v_add_f64 v[64:65], v[64:65], v[66:67]
	v_fma_f64 v[62:63], -0.5, v[60:61], v[76:77]
	v_add_f64 v[60:61], v[48:49], -v[54:55]
	v_fmac_f64_e32 v[134:135], s[10:11], v[64:65]
	v_fmac_f64_e32 v[6:7], s[10:11], v[64:65]
	v_fma_f64 v[66:67], s[12:13], v[60:61], v[62:63]
	v_add_f64 v[64:65], v[50:51], -v[52:53]
	v_add_f64 v[128:129], v[56:57], -v[58:59]
	;; [unrolled: 1-line block ×3, first 2 shown]
	v_fmac_f64_e32 v[62:63], s[14:15], v[60:61]
	v_fmac_f64_e32 v[66:67], s[4:5], v[64:65]
	v_add_f64 v[128:129], v[128:129], v[130:131]
	v_fmac_f64_e32 v[62:63], s[16:17], v[64:65]
	v_fmac_f64_e32 v[66:67], s[10:11], v[128:129]
	;; [unrolled: 1-line block ×3, first 2 shown]
	v_add_f64 v[128:129], v[56:57], v[124:125]
	v_fmac_f64_e32 v[76:77], -0.5, v[128:129]
	v_fma_f64 v[128:129], s[14:15], v[64:65], v[76:77]
	v_fmac_f64_e32 v[76:77], s[12:13], v[64:65]
	v_fmac_f64_e32 v[128:129], s[4:5], v[60:61]
	;; [unrolled: 1-line block ×3, first 2 shown]
	v_add_f64 v[60:61], v[78:79], v[48:49]
	v_add_f64 v[130:131], v[58:59], -v[56:57]
	v_add_f64 v[132:133], v[122:123], -v[124:125]
	v_add_f64 v[60:61], v[60:61], v[50:51]
	v_add_f64 v[130:131], v[130:131], v[132:133]
	;; [unrolled: 1-line block ×3, first 2 shown]
	v_fmac_f64_e32 v[128:129], s[10:11], v[130:131]
	v_fmac_f64_e32 v[76:77], s[10:11], v[130:131]
	v_add_f64 v[130:131], v[60:61], v[54:55]
	v_add_f64 v[60:61], v[50:51], v[52:53]
	v_fma_f64 v[132:133], -0.5, v[60:61], v[78:79]
	v_add_f64 v[56:57], v[56:57], -v[124:125]
	v_fma_f64 v[124:125], s[14:15], v[56:57], v[132:133]
	v_add_f64 v[58:59], v[58:59], -v[122:123]
	v_add_f64 v[60:61], v[48:49], -v[50:51]
	;; [unrolled: 1-line block ×3, first 2 shown]
	v_fmac_f64_e32 v[132:133], s[12:13], v[56:57]
	v_fmac_f64_e32 v[124:125], s[16:17], v[58:59]
	v_add_f64 v[60:61], v[60:61], v[64:65]
	v_fmac_f64_e32 v[132:133], s[4:5], v[58:59]
	v_fmac_f64_e32 v[124:125], s[10:11], v[60:61]
	;; [unrolled: 1-line block ×3, first 2 shown]
	v_add_f64 v[60:61], v[48:49], v[54:55]
	v_fmac_f64_e32 v[78:79], -0.5, v[60:61]
	v_fma_f64 v[122:123], s[12:13], v[58:59], v[78:79]
	v_add_f64 v[48:49], v[50:51], -v[48:49]
	v_add_f64 v[50:51], v[52:53], -v[54:55]
	v_fmac_f64_e32 v[122:123], s[16:17], v[56:57]
	v_add_f64 v[48:49], v[48:49], v[50:51]
	v_fmac_f64_e32 v[78:79], s[14:15], v[58:59]
	v_fmac_f64_e32 v[122:123], s[10:11], v[48:49]
	;; [unrolled: 1-line block ×4, first 2 shown]
	v_mul_f64 v[138:139], v[122:123], s[12:13]
	v_mul_f64 v[122:123], v[122:123], s[10:11]
	;; [unrolled: 1-line block ×3, first 2 shown]
	v_fmac_f64_e32 v[138:139], s[10:11], v[128:129]
	v_mul_f64 v[142:143], v[132:133], s[4:5]
	v_mul_f64 v[124:125], v[124:125], s[22:23]
	v_fmac_f64_e32 v[122:123], s[14:15], v[128:129]
	v_mul_f64 v[128:129], v[78:79], s[20:21]
	v_mul_f64 v[132:133], v[132:133], s[18:19]
	v_fmac_f64_e32 v[124:125], s[16:17], v[66:67]
	v_fmac_f64_e32 v[128:129], s[14:15], v[76:77]
	;; [unrolled: 1-line block ×4, first 2 shown]
	v_mul_f64 v[140:141], v[78:79], s[12:13]
	v_fmac_f64_e32 v[142:143], s[18:19], v[62:63]
	v_add_f64 v[58:59], v[74:75], v[130:131]
	v_add_f64 v[54:55], v[82:83], v[124:125]
	;; [unrolled: 1-line block ×4, first 2 shown]
	v_add_f64 v[78:79], v[74:75], -v[130:131]
	v_add_f64 v[74:75], v[82:83], -v[124:125]
	;; [unrolled: 1-line block ×4, first 2 shown]
	v_add_f64 v[98:99], v[0:1], v[114:115]
	v_mul_f64 v[118:119], v[154:155], v[250:251]
	v_add_f64 v[98:99], v[98:99], v[120:121]
	v_fmac_f64_e32 v[118:119], v[152:153], v[248:249]
	v_add_f64 v[98:99], v[98:99], v[116:117]
	v_add_f64 v[56:57], v[68:69], v[126:127]
	v_fmac_f64_e32 v[140:141], s[20:21], v[76:77]
	v_add_f64 v[76:77], v[68:69], -v[126:127]
	v_add_f64 v[126:127], v[98:99], v[118:119]
	v_add_f64 v[98:99], v[120:121], v[116:117]
	v_fma_f64 v[124:125], -0.5, v[98:99], v[0:1]
	v_add_f64 v[98:99], v[106:107], -v[112:113]
	v_add_f64 v[48:49], v[80:81], v[138:139]
	v_add_f64 v[64:65], v[4:5], v[140:141]
	;; [unrolled: 1-line block ×4, first 2 shown]
	v_add_f64 v[68:69], v[80:81], -v[138:139]
	v_add_f64 v[80:81], v[4:5], -v[140:141]
	;; [unrolled: 1-line block ×4, first 2 shown]
	v_fma_f64 v[128:129], s[12:13], v[98:99], v[124:125]
	v_add_f64 v[122:123], v[108:109], -v[110:111]
	v_add_f64 v[130:131], v[114:115], -v[120:121]
	;; [unrolled: 1-line block ×3, first 2 shown]
	v_fmac_f64_e32 v[124:125], s[14:15], v[98:99]
	v_fmac_f64_e32 v[128:129], s[4:5], v[122:123]
	v_add_f64 v[130:131], v[130:131], v[132:133]
	v_fmac_f64_e32 v[124:125], s[16:17], v[122:123]
	v_fmac_f64_e32 v[128:129], s[10:11], v[130:131]
	;; [unrolled: 1-line block ×3, first 2 shown]
	v_add_f64 v[130:131], v[114:115], v[118:119]
	v_fmac_f64_e32 v[0:1], -0.5, v[130:131]
	v_fma_f64 v[132:133], s[14:15], v[122:123], v[0:1]
	v_fmac_f64_e32 v[0:1], s[12:13], v[122:123]
	v_fmac_f64_e32 v[132:133], s[4:5], v[98:99]
	;; [unrolled: 1-line block ×3, first 2 shown]
	v_add_f64 v[98:99], v[2:3], v[106:107]
	v_add_f64 v[130:131], v[120:121], -v[114:115]
	v_add_f64 v[134:135], v[116:117], -v[118:119]
	v_add_f64 v[98:99], v[98:99], v[108:109]
	v_add_f64 v[130:131], v[130:131], v[134:135]
	;; [unrolled: 1-line block ×3, first 2 shown]
	v_fmac_f64_e32 v[132:133], s[10:11], v[130:131]
	v_fmac_f64_e32 v[0:1], s[10:11], v[130:131]
	v_add_f64 v[130:131], v[98:99], v[112:113]
	v_add_f64 v[98:99], v[108:109], v[110:111]
	v_fma_f64 v[122:123], -0.5, v[98:99], v[2:3]
	v_add_f64 v[98:99], v[114:115], -v[118:119]
	v_fma_f64 v[118:119], s[14:15], v[98:99], v[122:123]
	v_add_f64 v[114:115], v[120:121], -v[116:117]
	v_add_f64 v[116:117], v[106:107], -v[108:109]
	;; [unrolled: 1-line block ×3, first 2 shown]
	v_fmac_f64_e32 v[122:123], s[12:13], v[98:99]
	v_fmac_f64_e32 v[118:119], s[16:17], v[114:115]
	v_add_f64 v[116:117], v[116:117], v[120:121]
	v_fmac_f64_e32 v[122:123], s[4:5], v[114:115]
	v_fmac_f64_e32 v[118:119], s[10:11], v[116:117]
	;; [unrolled: 1-line block ×3, first 2 shown]
	v_add_f64 v[116:117], v[106:107], v[112:113]
	v_fmac_f64_e32 v[2:3], -0.5, v[116:117]
	v_fma_f64 v[120:121], s[12:13], v[114:115], v[2:3]
	v_fmac_f64_e32 v[2:3], s[14:15], v[114:115]
	v_fmac_f64_e32 v[120:121], s[16:17], v[98:99]
	;; [unrolled: 1-line block ×3, first 2 shown]
	v_add_f64 v[98:99], v[102:103], v[90:91]
	v_add_f64 v[106:107], v[108:109], -v[106:107]
	v_add_f64 v[108:109], v[110:111], -v[112:113]
	v_add_f64 v[98:99], v[98:99], v[92:93]
	v_add_f64 v[106:107], v[106:107], v[108:109]
	;; [unrolled: 1-line block ×3, first 2 shown]
	v_fmac_f64_e32 v[120:121], s[10:11], v[106:107]
	v_fmac_f64_e32 v[2:3], s[10:11], v[106:107]
	v_add_f64 v[106:107], v[98:99], v[100:101]
	v_add_f64 v[98:99], v[92:93], v[94:95]
	v_fma_f64 v[98:99], -0.5, v[98:99], v[102:103]
	v_add_f64 v[108:109], v[84:85], -v[96:97]
	v_fma_f64 v[110:111], s[12:13], v[108:109], v[98:99]
	v_add_f64 v[112:113], v[86:87], -v[88:89]
	v_add_f64 v[114:115], v[90:91], -v[92:93]
	;; [unrolled: 1-line block ×3, first 2 shown]
	v_fmac_f64_e32 v[98:99], s[14:15], v[108:109]
	v_fmac_f64_e32 v[110:111], s[4:5], v[112:113]
	v_add_f64 v[114:115], v[114:115], v[116:117]
	v_fmac_f64_e32 v[98:99], s[16:17], v[112:113]
	v_fmac_f64_e32 v[110:111], s[10:11], v[114:115]
	;; [unrolled: 1-line block ×3, first 2 shown]
	v_add_f64 v[114:115], v[90:91], v[100:101]
	v_fmac_f64_e32 v[102:103], -0.5, v[114:115]
	v_fma_f64 v[114:115], s[14:15], v[112:113], v[102:103]
	v_fmac_f64_e32 v[102:103], s[12:13], v[112:113]
	v_fmac_f64_e32 v[114:115], s[4:5], v[108:109]
	;; [unrolled: 1-line block ×3, first 2 shown]
	v_add_f64 v[108:109], v[104:105], v[84:85]
	v_add_f64 v[108:109], v[108:109], v[86:87]
	;; [unrolled: 1-line block ×4, first 2 shown]
	v_add_f64 v[72:73], v[72:73], -v[136:137]
	v_add_f64 v[136:137], v[108:109], v[96:97]
	v_add_f64 v[108:109], v[86:87], v[88:89]
	v_add_f64 v[116:117], v[92:93], -v[90:91]
	v_fma_f64 v[108:109], -0.5, v[108:109], v[104:105]
	v_add_f64 v[90:91], v[90:91], -v[100:101]
	v_add_f64 v[134:135], v[94:95], -v[100:101]
	v_fma_f64 v[112:113], s[14:15], v[90:91], v[108:109]
	v_add_f64 v[92:93], v[92:93], -v[94:95]
	v_add_f64 v[94:95], v[84:85], -v[86:87]
	;; [unrolled: 1-line block ×3, first 2 shown]
	v_fmac_f64_e32 v[108:109], s[12:13], v[90:91]
	v_fmac_f64_e32 v[112:113], s[16:17], v[92:93]
	v_add_f64 v[94:95], v[94:95], v[100:101]
	v_fmac_f64_e32 v[108:109], s[4:5], v[92:93]
	v_fmac_f64_e32 v[112:113], s[10:11], v[94:95]
	v_fmac_f64_e32 v[108:109], s[10:11], v[94:95]
	v_add_f64 v[94:95], v[84:85], v[96:97]
	v_add_f64 v[116:117], v[116:117], v[134:135]
	v_fmac_f64_e32 v[104:105], -0.5, v[94:95]
	v_fmac_f64_e32 v[114:115], s[10:11], v[116:117]
	v_fmac_f64_e32 v[102:103], s[10:11], v[116:117]
	v_fma_f64 v[116:117], s[12:13], v[92:93], v[104:105]
	v_add_f64 v[84:85], v[86:87], -v[84:85]
	v_add_f64 v[86:87], v[88:89], -v[96:97]
	v_fmac_f64_e32 v[116:117], s[16:17], v[90:91]
	v_add_f64 v[84:85], v[84:85], v[86:87]
	v_fmac_f64_e32 v[116:117], s[10:11], v[84:85]
	v_mul_f64 v[144:145], v[108:109], s[4:5]
	v_mul_f64 v[148:149], v[116:117], s[10:11]
	v_fmac_f64_e32 v[144:145], s[18:19], v[98:99]
	v_fmac_f64_e32 v[148:149], s[14:15], v[114:115]
	v_mul_f64 v[134:135], v[108:109], s[18:19]
	s_movk_i32 s18, 0x4a
	v_fmac_f64_e32 v[104:105], s[14:15], v[92:93]
	v_add_f64 v[92:93], v[126:127], v[106:107]
	v_mul_f64 v[138:139], v[112:113], s[4:5]
	v_mul_f64 v[146:147], v[112:113], s[22:23]
	v_add_f64 v[86:87], v[120:121], v[148:149]
	v_add_f64 v[112:113], v[126:127], -v[106:107]
	v_add_f64 v[106:107], v[120:121], -v[148:149]
	v_mov_b32_e32 v120, 0x2ee0
	v_cmp_lt_u32_e32 vcc, s18, v202
	v_lshlrev_b32_e32 v121, 4, v203
	v_fmac_f64_e32 v[104:105], s[4:5], v[90:91]
	v_cndmask_b32_e32 v120, 0, v120, vcc
	v_add3_u32 v120, 0, v120, v121
	v_fmac_f64_e32 v[104:105], s[10:11], v[84:85]
	s_barrier
	ds_write_b128 v120, v[16:19]
	ds_write_b128 v120, v[12:15] offset:1200
	ds_write_b128 v120, v[8:11] offset:2400
	;; [unrolled: 1-line block ×9, first 2 shown]
	v_mul_u32_u24_e32 v8, 0x2ee0, v207
	v_lshlrev_b32_sdwa v9, v242, v220 dst_sel:DWORD dst_unused:UNUSED_PAD src0_sel:DWORD src1_sel:BYTE_0
	v_mul_f64 v[142:143], v[104:105], s[12:13]
	v_add3_u32 v8, 0, v8, v9
	v_mul_f64 v[140:141], v[116:117], s[12:13]
	v_fmac_f64_e32 v[142:143], s[20:21], v[102:103]
	v_mul_f64 v[150:151], v[104:105], s[20:21]
	ds_write_b128 v8, v[56:59]
	ds_write_b128 v8, v[52:55] offset:1200
	ds_write_b128 v8, v[48:51] offset:2400
	;; [unrolled: 1-line block ×9, first 2 shown]
	v_mul_u32_u24_e32 v4, 0x2ee0, v215
	v_lshlrev_b32_e32 v5, 4, v243
	v_fmac_f64_e32 v[138:139], s[22:23], v[110:111]
	v_fmac_f64_e32 v[140:141], s[10:11], v[114:115]
	v_add_f64 v[100:101], v[0:1], v[142:143]
	v_add_f64 v[94:95], v[130:131], v[136:137]
	v_fmac_f64_e32 v[146:147], s[16:17], v[110:111]
	v_fmac_f64_e32 v[150:151], s[14:15], v[102:103]
	;; [unrolled: 1-line block ×3, first 2 shown]
	v_add_f64 v[116:117], v[0:1], -v[142:143]
	v_add_f64 v[0:1], v[124:125], -v[144:145]
	v_add3_u32 v4, 0, v4, v5
	v_lshlrev_b32_e32 v220, 2, v202
	v_add_f64 v[88:89], v[128:129], v[138:139]
	v_add_f64 v[84:85], v[132:133], v[140:141]
	;; [unrolled: 1-line block ×6, first 2 shown]
	v_add_f64 v[108:109], v[128:129], -v[138:139]
	v_add_f64 v[104:105], v[132:133], -v[140:141]
	;; [unrolled: 1-line block ×6, first 2 shown]
	ds_write_b128 v4, v[92:95]
	ds_write_b128 v4, v[88:91] offset:1200
	ds_write_b128 v4, v[84:87] offset:2400
	;; [unrolled: 1-line block ×9, first 2 shown]
	v_lshl_add_u64 v[0:1], v[220:221], 4, s[8:9]
	s_movk_i32 s20, 0x2000
	v_add_co_u32_e32 v2, vcc, s20, v0
	s_waitcnt lgkmcnt(0)
	s_nop 0
	v_addc_co_u32_e32 v3, vcc, 0, v1, vcc
	s_barrier
	global_load_dwordx4 v[108:111], v[2:3], off offset:3760
	s_mov_b64 s[18:19], 0x2eb0
	v_lshl_add_u64 v[8:9], v[0:1], 0, s[18:19]
	v_lshlrev_b32_e32 v220, 2, v206
	global_load_dwordx4 v[68:71], v[8:9], off offset:16
	global_load_dwordx4 v[64:67], v[8:9], off offset:32
	ds_read_b128 v[16:19], v213
	ds_read_b128 v[12:15], v239
	ds_read_b128 v[60:63], v238 offset:14000
	ds_read_b128 v[44:47], v238 offset:16000
	;; [unrolled: 1-line block ×8, first 2 shown]
	ds_read_b128 v[4:7], v241
	ds_read_b128 v[0:3], v240
	ds_read_b128 v[28:31], v238 offset:18000
	ds_read_b128 v[24:27], v238 offset:20000
	global_load_dwordx4 v[72:75], v[8:9], off offset:48
	v_lshl_add_u64 v[8:9], v[220:221], 4, s[8:9]
	v_add_co_u32_e32 v10, vcc, s20, v8
	v_lshlrev_b32_e32 v220, 2, v218
	s_nop 0
	v_addc_co_u32_e32 v11, vcc, 0, v9, vcc
	v_lshl_add_u64 v[8:9], v[8:9], 0, s[18:19]
	global_load_dwordx4 v[112:115], v[10:11], off offset:3760
	ds_read_b128 v[92:95], v238 offset:30000
	ds_read_b128 v[76:79], v238 offset:32000
	global_load_dwordx4 v[104:107], v[8:9], off offset:32
	global_load_dwordx4 v[120:123], v[8:9], off offset:16
	ds_read_b128 v[100:103], v238 offset:42000
	ds_read_b128 v[84:87], v238 offset:44000
	;; [unrolled: 1-line block ×4, first 2 shown]
	global_load_dwordx4 v[116:119], v[8:9], off offset:48
	v_lshl_add_u64 v[8:9], v[220:221], 4, s[8:9]
	v_add_co_u32_e32 v10, vcc, s20, v8
	v_lshl_add_u64 v[20:21], v[8:9], 0, s[18:19]
	s_nop 0
	v_addc_co_u32_e32 v11, vcc, 0, v9, vcc
	v_lshlrev_b32_e32 v220, 2, v216
	global_load_dwordx4 v[140:143], v[10:11], off offset:3760
	global_load_dwordx4 v[136:139], v[20:21], off offset:32
	;; [unrolled: 1-line block ×3, first 2 shown]
	ds_read_b128 v[174:177], v219
	ds_read_b128 v[8:11], v217
	ds_read_b128 v[152:155], v238 offset:24000
	ds_read_b128 v[88:91], v238 offset:22000
	global_load_dwordx4 v[144:147], v[20:21], off offset:48
	v_lshl_add_u64 v[20:21], v[220:221], 4, s[8:9]
	v_add_co_u32_e32 v22, vcc, s20, v20
	v_lshlrev_b32_e32 v220, 2, v214
	s_nop 0
	v_addc_co_u32_e32 v23, vcc, 0, v21, vcc
	v_lshl_add_u64 v[186:187], v[220:221], 4, s[8:9]
	v_add_co_u32_e32 v172, vcc, s20, v186
	v_lshl_add_u64 v[164:165], v[20:21], 0, s[18:19]
	s_nop 0
	v_addc_co_u32_e32 v173, vcc, 0, v187, vcc
	global_load_dwordx4 v[160:163], v[22:23], off offset:3760
	ds_read_b128 v[178:181], v238 offset:36000
	ds_read_b128 v[124:127], v238 offset:34000
	global_load_dwordx4 v[156:159], v[164:165], off offset:32
	global_load_dwordx4 v[168:171], v[164:165], off offset:16
	ds_read_b128 v[182:185], v238 offset:48000
	ds_read_b128 v[132:135], v238 offset:46000
	ds_read_b128 v[20:23], v238
	ds_read_b128 v[128:131], v238 offset:58000
	global_load_dwordx4 v[164:167], v[164:165], off offset:48
	v_lshl_add_u64 v[186:187], v[186:187], 0, s[18:19]
	global_load_dwordx4 v[208:211], v[172:173], off offset:3760
	v_lshlrev_b32_e32 v220, 2, v212
	global_load_dwordx4 v[222:225], v[186:187], off offset:32
	global_load_dwordx4 v[226:229], v[186:187], off offset:16
	;; [unrolled: 1-line block ×3, first 2 shown]
	s_waitcnt vmcnt(19) lgkmcnt(9)
	v_mul_f64 v[172:173], v[176:177], v[110:111]
	v_fmac_f64_e32 v[172:173], v[174:175], v[108:109]
	v_mul_f64 v[110:111], v[174:175], v[110:111]
	v_lshl_add_u64 v[174:175], v[220:221], 4, s[8:9]
	v_fma_f64 v[108:109], v[176:177], v[108:109], -v[110:111]
	v_add_co_u32_e32 v176, vcc, s20, v174
	s_waitcnt vmcnt(17) lgkmcnt(5)
	v_mul_f64 v[196:197], v[180:181], v[66:67]
	v_addc_co_u32_e32 v177, vcc, 0, v175, vcc
	global_load_dwordx4 v[234:237], v[176:177], off offset:3760
	v_lshl_add_u64 v[174:175], v[174:175], 0, s[18:19]
	global_load_dwordx4 v[242:245], v[174:175], off offset:32
	global_load_dwordx4 v[246:249], v[174:175], off offset:16
	;; [unrolled: 1-line block ×3, first 2 shown]
	v_mul_f64 v[66:67], v[178:179], v[66:67]
	s_waitcnt vmcnt(20) lgkmcnt(3)
	v_mul_f64 v[198:199], v[184:185], v[74:75]
	s_waitcnt vmcnt(18)
	v_mul_f64 v[186:187], v[54:55], v[106:107]
	v_fmac_f64_e32 v[196:197], v[178:179], v[64:65]
	v_fma_f64 v[192:193], v[180:181], v[64:65], -v[66:67]
	v_fmac_f64_e32 v[198:199], v[182:183], v[72:73]
	v_mul_f64 v[64:65], v[182:183], v[74:75]
	v_mul_f64 v[182:183], v[62:63], v[114:115]
	v_fmac_f64_e32 v[186:187], v[52:53], v[104:105]
	v_mul_f64 v[52:53], v[52:53], v[106:107]
	v_fmac_f64_e32 v[182:183], v[60:61], v[112:113]
	v_mul_f64 v[60:61], v[60:61], v[114:115]
	v_fma_f64 v[114:115], v[54:55], v[104:105], -v[52:53]
	s_waitcnt vmcnt(14)
	v_mul_f64 v[176:177], v[38:39], v[138:139]
	v_mul_f64 v[110:111], v[154:155], v[70:71]
	;; [unrolled: 1-line block ×3, first 2 shown]
	v_fmac_f64_e32 v[176:177], v[36:37], v[136:137]
	v_mul_f64 v[36:37], v[36:37], v[138:139]
	v_fma_f64 v[190:191], v[154:155], v[68:69], -v[70:71]
	v_mul_f64 v[74:75], v[46:47], v[142:143]
	v_fma_f64 v[154:155], v[38:39], v[136:137], -v[36:37]
	v_fmac_f64_e32 v[74:75], v[44:45], v[140:141]
	v_mul_f64 v[44:45], v[44:45], v[142:143]
	v_fmac_f64_e32 v[110:111], v[152:153], v[68:69]
	v_fma_f64 v[194:195], v[184:185], v[72:73], -v[64:65]
	v_mul_f64 v[184:185], v[58:59], v[122:123]
	v_fma_f64 v[68:69], v[46:47], v[140:141], -v[44:45]
	v_fmac_f64_e32 v[184:185], v[56:57], v[120:121]
	v_mul_f64 v[56:57], v[56:57], v[122:123]
	v_fma_f64 v[72:73], v[62:63], v[112:113], -v[60:61]
	v_fma_f64 v[112:113], v[58:59], v[120:121], -v[56:57]
	s_waitcnt vmcnt(11)
	v_mul_f64 v[70:71], v[30:31], v[162:163]
	v_fmac_f64_e32 v[70:71], v[28:29], v[160:161]
	v_mul_f64 v[28:29], v[28:29], v[162:163]
	s_waitcnt vmcnt(7)
	v_mul_f64 v[52:53], v[26:27], v[210:211]
	v_fmac_f64_e32 v[52:53], v[24:25], v[208:209]
	v_mul_f64 v[24:25], v[24:25], v[210:211]
	v_fma_f64 v[36:37], v[26:27], v[208:209], -v[24:25]
	s_waitcnt vmcnt(5)
	v_mul_f64 v[24:25], v[76:77], v[228:229]
	v_fma_f64 v[38:39], v[78:79], v[226:227], -v[24:25]
	v_mul_f64 v[24:25], v[84:85], v[224:225]
	v_fma_f64 v[44:45], v[86:87], v[222:223], -v[24:25]
	s_waitcnt vmcnt(4)
	v_mul_f64 v[24:25], v[80:81], v[232:233]
	v_fma_f64 v[46:47], v[82:83], v[230:231], -v[24:25]
	v_mul_f64 v[174:175], v[42:43], v[150:151]
	v_fma_f64 v[104:105], v[30:31], v[160:161], -v[28:29]
	v_mul_f64 v[28:29], v[92:93], v[170:171]
	v_fmac_f64_e32 v[174:175], v[40:41], v[148:149]
	v_mul_f64 v[40:41], v[40:41], v[150:151]
	v_mul_f64 v[178:179], v[34:35], v[146:147]
	v_fma_f64 v[106:107], v[94:95], v[168:169], -v[28:29]
	v_mul_f64 v[28:29], v[100:101], v[158:159]
	v_mul_f64 v[150:151], v[98:99], v[166:167]
	v_fmac_f64_e32 v[178:179], v[32:33], v[144:145]
	v_mul_f64 v[32:33], v[32:33], v[146:147]
	v_fma_f64 v[142:143], v[102:103], v[156:157], -v[28:29]
	v_fmac_f64_e32 v[150:151], v[96:97], v[164:165]
	v_mul_f64 v[28:29], v[96:97], v[166:167]
	v_fma_f64 v[32:33], v[34:35], v[144:145], -v[32:33]
	v_fma_f64 v[144:145], v[98:99], v[164:165], -v[28:29]
	v_add_f64 v[26:27], v[190:191], -v[192:193]
	v_add_f64 v[30:31], v[172:173], -v[110:111]
	;; [unrolled: 1-line block ×3, first 2 shown]
	v_add_f64 v[30:31], v[30:31], v[34:35]
	v_add_f64 v[34:35], v[196:197], -v[198:199]
	v_fma_f64 v[152:153], v[42:43], v[148:149], -v[40:41]
	v_add_f64 v[40:41], v[194:195], -v[192:193]
	v_mul_f64 v[188:189], v[50:51], v[118:119]
	v_fmac_f64_e32 v[188:189], v[48:49], v[116:117]
	v_mul_f64 v[48:49], v[48:49], v[118:119]
	v_fma_f64 v[180:181], v[50:51], v[116:117], -v[48:49]
	v_mul_f64 v[146:147], v[94:95], v[170:171]
	v_fmac_f64_e32 v[146:147], v[92:93], v[168:169]
	v_add_f64 v[42:43], v[178:179], -v[176:177]
	v_mul_f64 v[148:149], v[102:103], v[158:159]
	v_fmac_f64_e32 v[148:149], v[100:101], v[156:157]
	s_waitcnt vmcnt(3)
	v_mul_f64 v[24:25], v[88:89], v[236:237]
	v_fma_f64 v[120:121], v[90:91], v[234:235], -v[24:25]
	s_waitcnt vmcnt(1)
	v_mul_f64 v[24:25], v[124:125], v[248:249]
	v_mul_f64 v[138:139], v[126:127], v[248:249]
	v_fma_f64 v[122:123], v[126:127], v[246:247], -v[24:25]
	s_waitcnt lgkmcnt(2)
	v_mul_f64 v[24:25], v[132:133], v[244:245]
	v_fmac_f64_e32 v[138:139], v[124:125], v[246:247]
	v_fma_f64 v[124:125], v[134:135], v[242:243], -v[24:25]
	s_waitcnt vmcnt(0) lgkmcnt(0)
	v_mul_f64 v[24:25], v[128:129], v[252:253]
	v_fma_f64 v[126:127], v[130:131], v[250:251], -v[24:25]
	v_add_f64 v[24:25], v[20:21], v[172:173]
	v_add_f64 v[24:25], v[24:25], v[110:111]
	;; [unrolled: 1-line block ×5, first 2 shown]
	v_fma_f64 v[28:29], -0.5, v[24:25], v[20:21]
	v_add_f64 v[24:25], v[108:109], -v[194:195]
	v_fma_f64 v[60:61], s[12:13], v[24:25], v[28:29]
	v_fmac_f64_e32 v[28:29], s[14:15], v[24:25]
	v_fmac_f64_e32 v[60:61], s[4:5], v[26:27]
	;; [unrolled: 1-line block ×5, first 2 shown]
	v_add_f64 v[30:31], v[172:173], v[198:199]
	v_fmac_f64_e32 v[20:21], -0.5, v[30:31]
	v_fma_f64 v[56:57], s[14:15], v[26:27], v[20:21]
	v_fmac_f64_e32 v[20:21], s[12:13], v[26:27]
	v_fmac_f64_e32 v[56:57], s[4:5], v[24:25]
	;; [unrolled: 1-line block ×3, first 2 shown]
	v_add_f64 v[24:25], v[22:23], v[108:109]
	v_add_f64 v[24:25], v[24:25], v[190:191]
	v_add_f64 v[30:31], v[110:111], -v[172:173]
	v_add_f64 v[24:25], v[24:25], v[192:193]
	v_add_f64 v[30:31], v[30:31], v[34:35]
	;; [unrolled: 1-line block ×4, first 2 shown]
	v_fmac_f64_e32 v[56:57], s[10:11], v[30:31]
	v_fmac_f64_e32 v[20:21], s[10:11], v[30:31]
	v_fma_f64 v[30:31], -0.5, v[24:25], v[22:23]
	v_add_f64 v[24:25], v[172:173], -v[198:199]
	v_fma_f64 v[62:63], s[14:15], v[24:25], v[30:31]
	v_add_f64 v[26:27], v[110:111], -v[196:197]
	v_add_f64 v[34:35], v[108:109], -v[190:191]
	v_fmac_f64_e32 v[30:31], s[12:13], v[24:25]
	v_fmac_f64_e32 v[62:63], s[16:17], v[26:27]
	v_add_f64 v[34:35], v[34:35], v[40:41]
	v_fmac_f64_e32 v[30:31], s[4:5], v[26:27]
	v_fmac_f64_e32 v[62:63], s[10:11], v[34:35]
	v_fmac_f64_e32 v[30:31], s[10:11], v[34:35]
	v_add_f64 v[34:35], v[108:109], v[194:195]
	v_fmac_f64_e32 v[22:23], -0.5, v[34:35]
	v_fma_f64 v[58:59], s[12:13], v[26:27], v[22:23]
	v_fmac_f64_e32 v[22:23], s[14:15], v[26:27]
	v_fmac_f64_e32 v[58:59], s[16:17], v[24:25]
	;; [unrolled: 1-line block ×3, first 2 shown]
	v_add_f64 v[24:25], v[16:17], v[182:183]
	v_add_f64 v[24:25], v[24:25], v[184:185]
	;; [unrolled: 1-line block ×3, first 2 shown]
	v_add_f64 v[34:35], v[190:191], -v[108:109]
	v_add_f64 v[40:41], v[192:193], -v[194:195]
	v_add_f64 v[116:117], v[24:25], v[188:189]
	v_add_f64 v[24:25], v[184:185], v[186:187]
	;; [unrolled: 1-line block ×3, first 2 shown]
	v_fma_f64 v[48:49], -0.5, v[24:25], v[16:17]
	v_add_f64 v[24:25], v[72:73], -v[180:181]
	v_fmac_f64_e32 v[58:59], s[10:11], v[34:35]
	v_fmac_f64_e32 v[22:23], s[10:11], v[34:35]
	v_fma_f64 v[108:109], s[12:13], v[24:25], v[48:49]
	v_add_f64 v[26:27], v[112:113], -v[114:115]
	v_add_f64 v[34:35], v[182:183], -v[184:185]
	;; [unrolled: 1-line block ×3, first 2 shown]
	v_fmac_f64_e32 v[48:49], s[14:15], v[24:25]
	v_fmac_f64_e32 v[108:109], s[4:5], v[26:27]
	v_add_f64 v[34:35], v[34:35], v[40:41]
	v_fmac_f64_e32 v[48:49], s[16:17], v[26:27]
	v_fmac_f64_e32 v[108:109], s[10:11], v[34:35]
	;; [unrolled: 1-line block ×3, first 2 shown]
	v_add_f64 v[34:35], v[182:183], v[188:189]
	v_fmac_f64_e32 v[16:17], -0.5, v[34:35]
	v_fma_f64 v[92:93], s[14:15], v[26:27], v[16:17]
	v_fmac_f64_e32 v[16:17], s[12:13], v[26:27]
	v_fmac_f64_e32 v[92:93], s[4:5], v[24:25]
	;; [unrolled: 1-line block ×3, first 2 shown]
	v_add_f64 v[24:25], v[18:19], v[72:73]
	v_add_f64 v[24:25], v[24:25], v[112:113]
	;; [unrolled: 1-line block ×3, first 2 shown]
	v_add_f64 v[34:35], v[184:185], -v[182:183]
	v_add_f64 v[40:41], v[186:187], -v[188:189]
	v_add_f64 v[118:119], v[24:25], v[180:181]
	v_add_f64 v[24:25], v[112:113], v[114:115]
	;; [unrolled: 1-line block ×3, first 2 shown]
	v_fma_f64 v[50:51], -0.5, v[24:25], v[18:19]
	v_add_f64 v[24:25], v[182:183], -v[188:189]
	v_fmac_f64_e32 v[92:93], s[10:11], v[34:35]
	v_fmac_f64_e32 v[16:17], s[10:11], v[34:35]
	v_fma_f64 v[110:111], s[14:15], v[24:25], v[50:51]
	v_add_f64 v[26:27], v[184:185], -v[186:187]
	v_add_f64 v[34:35], v[72:73], -v[112:113]
	v_add_f64 v[40:41], v[180:181], -v[114:115]
	v_fmac_f64_e32 v[50:51], s[12:13], v[24:25]
	v_fmac_f64_e32 v[110:111], s[16:17], v[26:27]
	v_add_f64 v[34:35], v[34:35], v[40:41]
	v_fmac_f64_e32 v[50:51], s[4:5], v[26:27]
	v_fmac_f64_e32 v[110:111], s[10:11], v[34:35]
	;; [unrolled: 1-line block ×3, first 2 shown]
	v_add_f64 v[34:35], v[72:73], v[180:181]
	v_fmac_f64_e32 v[18:19], -0.5, v[34:35]
	v_fma_f64 v[94:95], s[12:13], v[26:27], v[18:19]
	v_fmac_f64_e32 v[18:19], s[14:15], v[26:27]
	v_fmac_f64_e32 v[94:95], s[16:17], v[24:25]
	;; [unrolled: 1-line block ×3, first 2 shown]
	v_add_f64 v[24:25], v[12:13], v[74:75]
	v_add_f64 v[24:25], v[24:25], v[174:175]
	;; [unrolled: 1-line block ×3, first 2 shown]
	v_add_f64 v[34:35], v[112:113], -v[72:73]
	v_add_f64 v[40:41], v[114:115], -v[180:181]
	v_add_f64 v[112:113], v[24:25], v[178:179]
	v_add_f64 v[24:25], v[174:175], v[176:177]
	v_mul_f64 v[136:137], v[90:91], v[236:237]
	v_add_f64 v[34:35], v[34:35], v[40:41]
	v_fma_f64 v[40:41], -0.5, v[24:25], v[12:13]
	v_add_f64 v[24:25], v[68:69], -v[32:33]
	v_fmac_f64_e32 v[136:137], v[88:89], v[234:235]
	v_fmac_f64_e32 v[94:95], s[10:11], v[34:35]
	;; [unrolled: 1-line block ×3, first 2 shown]
	v_fma_f64 v[88:89], s[12:13], v[24:25], v[40:41]
	v_add_f64 v[26:27], v[152:153], -v[154:155]
	v_add_f64 v[34:35], v[74:75], -v[174:175]
	v_fmac_f64_e32 v[40:41], s[14:15], v[24:25]
	v_fmac_f64_e32 v[88:89], s[4:5], v[26:27]
	v_add_f64 v[34:35], v[34:35], v[42:43]
	v_fmac_f64_e32 v[40:41], s[16:17], v[26:27]
	v_fmac_f64_e32 v[88:89], s[10:11], v[34:35]
	v_fmac_f64_e32 v[40:41], s[10:11], v[34:35]
	v_add_f64 v[34:35], v[74:75], v[178:179]
	v_fmac_f64_e32 v[12:13], -0.5, v[34:35]
	v_fma_f64 v[72:73], s[14:15], v[26:27], v[12:13]
	v_fmac_f64_e32 v[12:13], s[12:13], v[26:27]
	v_fmac_f64_e32 v[72:73], s[4:5], v[24:25]
	;; [unrolled: 1-line block ×3, first 2 shown]
	v_add_f64 v[24:25], v[14:15], v[68:69]
	v_add_f64 v[24:25], v[24:25], v[152:153]
	;; [unrolled: 1-line block ×3, first 2 shown]
	v_add_f64 v[34:35], v[174:175], -v[74:75]
	v_add_f64 v[42:43], v[176:177], -v[178:179]
	v_add_f64 v[114:115], v[24:25], v[32:33]
	v_add_f64 v[24:25], v[152:153], v[154:155]
	;; [unrolled: 1-line block ×3, first 2 shown]
	v_fma_f64 v[42:43], -0.5, v[24:25], v[14:15]
	v_add_f64 v[24:25], v[74:75], -v[178:179]
	v_fmac_f64_e32 v[72:73], s[10:11], v[34:35]
	v_fmac_f64_e32 v[12:13], s[10:11], v[34:35]
	v_fma_f64 v[90:91], s[14:15], v[24:25], v[42:43]
	v_add_f64 v[26:27], v[174:175], -v[176:177]
	v_add_f64 v[34:35], v[68:69], -v[152:153]
	v_add_f64 v[74:75], v[32:33], -v[154:155]
	v_fmac_f64_e32 v[42:43], s[12:13], v[24:25]
	v_fmac_f64_e32 v[90:91], s[16:17], v[26:27]
	v_add_f64 v[34:35], v[34:35], v[74:75]
	v_fmac_f64_e32 v[42:43], s[4:5], v[26:27]
	v_fmac_f64_e32 v[90:91], s[10:11], v[34:35]
	;; [unrolled: 1-line block ×3, first 2 shown]
	v_add_f64 v[34:35], v[68:69], v[32:33]
	v_fmac_f64_e32 v[14:15], -0.5, v[34:35]
	v_fma_f64 v[74:75], s[12:13], v[26:27], v[14:15]
	v_fmac_f64_e32 v[14:15], s[14:15], v[26:27]
	v_fmac_f64_e32 v[74:75], s[16:17], v[24:25]
	;; [unrolled: 1-line block ×3, first 2 shown]
	v_add_f64 v[24:25], v[4:5], v[70:71]
	v_add_f64 v[24:25], v[24:25], v[146:147]
	v_add_f64 v[34:35], v[152:153], -v[68:69]
	v_add_f64 v[32:33], v[154:155], -v[32:33]
	v_add_f64 v[24:25], v[24:25], v[148:149]
	v_add_f64 v[32:33], v[34:35], v[32:33]
	v_add_f64 v[100:101], v[24:25], v[150:151]
	v_add_f64 v[24:25], v[146:147], v[148:149]
	v_mul_f64 v[66:67], v[82:83], v[232:233]
	v_fmac_f64_e32 v[74:75], s[10:11], v[32:33]
	v_fmac_f64_e32 v[14:15], s[10:11], v[32:33]
	v_fma_f64 v[32:33], -0.5, v[24:25], v[4:5]
	v_add_f64 v[24:25], v[104:105], -v[144:145]
	v_fmac_f64_e32 v[66:67], v[80:81], v[230:231]
	v_fma_f64 v[80:81], s[12:13], v[24:25], v[32:33]
	v_add_f64 v[26:27], v[106:107], -v[142:143]
	v_add_f64 v[34:35], v[70:71], -v[146:147]
	;; [unrolled: 1-line block ×3, first 2 shown]
	v_fmac_f64_e32 v[32:33], s[14:15], v[24:25]
	v_fmac_f64_e32 v[80:81], s[4:5], v[26:27]
	v_add_f64 v[34:35], v[34:35], v[68:69]
	v_fmac_f64_e32 v[32:33], s[16:17], v[26:27]
	v_fmac_f64_e32 v[80:81], s[10:11], v[34:35]
	v_fmac_f64_e32 v[32:33], s[10:11], v[34:35]
	v_add_f64 v[34:35], v[70:71], v[150:151]
	v_fmac_f64_e32 v[4:5], -0.5, v[34:35]
	v_fma_f64 v[68:69], s[14:15], v[26:27], v[4:5]
	v_fmac_f64_e32 v[4:5], s[12:13], v[26:27]
	v_fmac_f64_e32 v[68:69], s[4:5], v[24:25]
	;; [unrolled: 1-line block ×3, first 2 shown]
	v_add_f64 v[24:25], v[6:7], v[104:105]
	v_mul_f64 v[54:55], v[78:79], v[228:229]
	v_add_f64 v[24:25], v[24:25], v[106:107]
	v_fmac_f64_e32 v[54:55], v[76:77], v[226:227]
	v_add_f64 v[34:35], v[146:147], -v[70:71]
	v_add_f64 v[76:77], v[148:149], -v[150:151]
	v_add_f64 v[24:25], v[24:25], v[142:143]
	v_add_f64 v[34:35], v[34:35], v[76:77]
	;; [unrolled: 1-line block ×4, first 2 shown]
	v_fmac_f64_e32 v[68:69], s[10:11], v[34:35]
	v_fmac_f64_e32 v[4:5], s[10:11], v[34:35]
	v_fma_f64 v[34:35], -0.5, v[24:25], v[6:7]
	v_add_f64 v[24:25], v[70:71], -v[150:151]
	v_fma_f64 v[82:83], s[14:15], v[24:25], v[34:35]
	v_add_f64 v[26:27], v[146:147], -v[148:149]
	v_add_f64 v[70:71], v[104:105], -v[106:107]
	;; [unrolled: 1-line block ×3, first 2 shown]
	v_fmac_f64_e32 v[34:35], s[12:13], v[24:25]
	v_fmac_f64_e32 v[82:83], s[16:17], v[26:27]
	v_add_f64 v[70:71], v[70:71], v[76:77]
	v_fmac_f64_e32 v[34:35], s[4:5], v[26:27]
	v_fmac_f64_e32 v[82:83], s[10:11], v[70:71]
	;; [unrolled: 1-line block ×3, first 2 shown]
	v_add_f64 v[70:71], v[104:105], v[144:145]
	v_fmac_f64_e32 v[6:7], -0.5, v[70:71]
	v_fma_f64 v[70:71], s[12:13], v[26:27], v[6:7]
	v_fmac_f64_e32 v[6:7], s[14:15], v[26:27]
	v_mul_f64 v[64:65], v[86:87], v[224:225]
	v_fmac_f64_e32 v[70:71], s[16:17], v[24:25]
	v_fmac_f64_e32 v[6:7], s[4:5], v[24:25]
	v_add_f64 v[24:25], v[0:1], v[52:53]
	v_fmac_f64_e32 v[64:65], v[84:85], v[222:223]
	v_add_f64 v[24:25], v[24:25], v[54:55]
	v_add_f64 v[24:25], v[24:25], v[64:65]
	v_add_f64 v[76:77], v[106:107], -v[104:105]
	v_add_f64 v[78:79], v[142:143], -v[144:145]
	v_add_f64 v[104:105], v[24:25], v[66:67]
	v_add_f64 v[24:25], v[54:55], v[64:65]
	;; [unrolled: 1-line block ×3, first 2 shown]
	v_fma_f64 v[24:25], -0.5, v[24:25], v[0:1]
	v_add_f64 v[26:27], v[36:37], -v[46:47]
	v_fmac_f64_e32 v[70:71], s[10:11], v[76:77]
	v_fmac_f64_e32 v[6:7], s[10:11], v[76:77]
	v_fma_f64 v[84:85], s[12:13], v[26:27], v[24:25]
	v_add_f64 v[78:79], v[38:39], -v[44:45]
	v_add_f64 v[76:77], v[52:53], -v[54:55]
	;; [unrolled: 1-line block ×3, first 2 shown]
	v_fmac_f64_e32 v[24:25], s[14:15], v[26:27]
	v_fmac_f64_e32 v[84:85], s[4:5], v[78:79]
	v_add_f64 v[76:77], v[76:77], v[86:87]
	v_fmac_f64_e32 v[24:25], s[16:17], v[78:79]
	v_fmac_f64_e32 v[84:85], s[10:11], v[76:77]
	;; [unrolled: 1-line block ×3, first 2 shown]
	v_add_f64 v[76:77], v[52:53], v[66:67]
	v_fmac_f64_e32 v[0:1], -0.5, v[76:77]
	v_fma_f64 v[76:77], s[14:15], v[78:79], v[0:1]
	v_fmac_f64_e32 v[0:1], s[12:13], v[78:79]
	v_fmac_f64_e32 v[76:77], s[4:5], v[26:27]
	;; [unrolled: 1-line block ×3, first 2 shown]
	v_add_f64 v[26:27], v[2:3], v[36:37]
	v_add_f64 v[26:27], v[26:27], v[38:39]
	v_add_f64 v[86:87], v[54:55], -v[52:53]
	v_add_f64 v[106:107], v[64:65], -v[66:67]
	v_add_f64 v[26:27], v[26:27], v[44:45]
	v_add_f64 v[86:87], v[86:87], v[106:107]
	;; [unrolled: 1-line block ×4, first 2 shown]
	v_fma_f64 v[26:27], -0.5, v[26:27], v[2:3]
	v_add_f64 v[52:53], v[52:53], -v[66:67]
	v_fmac_f64_e32 v[76:77], s[10:11], v[86:87]
	v_fmac_f64_e32 v[0:1], s[10:11], v[86:87]
	v_fma_f64 v[86:87], s[14:15], v[52:53], v[26:27]
	v_add_f64 v[54:55], v[54:55], -v[64:65]
	v_add_f64 v[64:65], v[36:37], -v[38:39]
	;; [unrolled: 1-line block ×3, first 2 shown]
	v_fmac_f64_e32 v[26:27], s[12:13], v[52:53]
	v_fmac_f64_e32 v[86:87], s[16:17], v[54:55]
	v_add_f64 v[64:65], v[64:65], v[66:67]
	v_fmac_f64_e32 v[26:27], s[4:5], v[54:55]
	v_fmac_f64_e32 v[86:87], s[10:11], v[64:65]
	;; [unrolled: 1-line block ×3, first 2 shown]
	v_add_f64 v[64:65], v[36:37], v[46:47]
	v_fmac_f64_e32 v[2:3], -0.5, v[64:65]
	v_fma_f64 v[78:79], s[12:13], v[54:55], v[2:3]
	v_add_f64 v[36:37], v[38:39], -v[36:37]
	v_add_f64 v[38:39], v[44:45], -v[46:47]
	v_fmac_f64_e32 v[2:3], s[14:15], v[54:55]
	v_fmac_f64_e32 v[78:79], s[16:17], v[52:53]
	v_add_f64 v[36:37], v[36:37], v[38:39]
	v_fmac_f64_e32 v[2:3], s[4:5], v[52:53]
	v_mul_f64 v[140:141], v[134:135], v[244:245]
	v_fmac_f64_e32 v[78:79], s[10:11], v[36:37]
	v_fmac_f64_e32 v[2:3], s[10:11], v[36:37]
	v_add_f64 v[36:37], v[8:9], v[136:137]
	v_fmac_f64_e32 v[140:141], v[132:133], v[242:243]
	v_mul_f64 v[132:133], v[130:131], v[252:253]
	v_add_f64 v[36:37], v[36:37], v[138:139]
	v_fmac_f64_e32 v[132:133], v[128:129], v[250:251]
	v_add_f64 v[36:37], v[36:37], v[140:141]
	v_add_f64 v[44:45], v[36:37], v[132:133]
	;; [unrolled: 1-line block ×3, first 2 shown]
	v_fma_f64 v[36:37], -0.5, v[36:37], v[8:9]
	v_add_f64 v[38:39], v[120:121], -v[126:127]
	v_fma_f64 v[52:53], s[12:13], v[38:39], v[36:37]
	v_add_f64 v[46:47], v[122:123], -v[124:125]
	v_add_f64 v[54:55], v[136:137], -v[138:139]
	;; [unrolled: 1-line block ×3, first 2 shown]
	v_fmac_f64_e32 v[36:37], s[14:15], v[38:39]
	v_fmac_f64_e32 v[52:53], s[4:5], v[46:47]
	v_add_f64 v[54:55], v[54:55], v[64:65]
	v_fmac_f64_e32 v[36:37], s[16:17], v[46:47]
	v_fmac_f64_e32 v[52:53], s[10:11], v[54:55]
	;; [unrolled: 1-line block ×3, first 2 shown]
	v_add_f64 v[54:55], v[136:137], v[132:133]
	v_fmac_f64_e32 v[8:9], -0.5, v[54:55]
	v_fma_f64 v[64:65], s[14:15], v[46:47], v[8:9]
	v_fmac_f64_e32 v[8:9], s[12:13], v[46:47]
	v_fmac_f64_e32 v[64:65], s[4:5], v[38:39]
	v_fmac_f64_e32 v[8:9], s[16:17], v[38:39]
	v_add_f64 v[38:39], v[10:11], v[120:121]
	v_add_f64 v[38:39], v[38:39], v[122:123]
	;; [unrolled: 1-line block ×3, first 2 shown]
	v_add_f64 v[54:55], v[138:139], -v[136:137]
	v_add_f64 v[66:67], v[140:141], -v[132:133]
	v_add_f64 v[46:47], v[38:39], v[126:127]
	v_add_f64 v[38:39], v[122:123], v[124:125]
	;; [unrolled: 1-line block ×3, first 2 shown]
	v_fma_f64 v[38:39], -0.5, v[38:39], v[10:11]
	v_add_f64 v[128:129], v[136:137], -v[132:133]
	v_fmac_f64_e32 v[64:65], s[10:11], v[54:55]
	v_fmac_f64_e32 v[8:9], s[10:11], v[54:55]
	v_fma_f64 v[54:55], s[14:15], v[128:129], v[38:39]
	v_add_f64 v[130:131], v[138:139], -v[140:141]
	v_add_f64 v[66:67], v[120:121], -v[122:123]
	;; [unrolled: 1-line block ×3, first 2 shown]
	v_fmac_f64_e32 v[38:39], s[12:13], v[128:129]
	v_fmac_f64_e32 v[54:55], s[16:17], v[130:131]
	v_add_f64 v[66:67], v[66:67], v[132:133]
	v_fmac_f64_e32 v[38:39], s[4:5], v[130:131]
	v_fmac_f64_e32 v[54:55], s[10:11], v[66:67]
	;; [unrolled: 1-line block ×3, first 2 shown]
	v_add_f64 v[66:67], v[120:121], v[126:127]
	v_fmac_f64_e32 v[10:11], -0.5, v[66:67]
	v_fma_f64 v[66:67], s[12:13], v[130:131], v[10:11]
	v_add_f64 v[120:121], v[122:123], -v[120:121]
	v_add_f64 v[122:123], v[124:125], -v[126:127]
	v_fmac_f64_e32 v[10:11], s[14:15], v[130:131]
	v_fmac_f64_e32 v[66:67], s[16:17], v[128:129]
	v_add_f64 v[120:121], v[120:121], v[122:123]
	v_fmac_f64_e32 v[10:11], s[4:5], v[128:129]
	v_fmac_f64_e32 v[66:67], s[10:11], v[120:121]
	;; [unrolled: 1-line block ×3, first 2 shown]
	s_barrier
	ds_write_b128 v238, v[96:99]
	ds_write_b128 v238, v[60:63] offset:12000
	ds_write_b128 v238, v[56:59] offset:24000
	ds_write_b128 v238, v[20:23] offset:36000
	ds_write_b128 v238, v[28:31] offset:48000
	ds_write_b128 v213, v[116:119]
	ds_write_b128 v213, v[108:111] offset:12000
	ds_write_b128 v213, v[92:95] offset:24000
	ds_write_b128 v213, v[16:19] offset:36000
	ds_write_b128 v213, v[48:51] offset:48000
	;; [unrolled: 5-line block ×6, first 2 shown]
	s_waitcnt lgkmcnt(0)
	s_barrier
	ds_read_b128 v[4:7], v238
	s_add_u32 s4, s8, 0xea30
	v_accvgpr_read_b32 v0, a1
	s_addc_u32 s5, s9, 0
	v_sub_u32_e32 v20, 0, v0
	v_cmp_ne_u32_e32 vcc, 0, v202
                                        ; implicit-def: $vgpr2_vgpr3
                                        ; implicit-def: $vgpr8_vgpr9
	s_and_saveexec_b64 s[8:9], vcc
	s_xor_b64 s[8:9], exec, s[8:9]
	s_cbranch_execz .LBB0_15
; %bb.14:
	v_mov_b32_e32 v203, v221
	v_lshl_add_u64 v[0:1], v[202:203], 4, s[4:5]
	global_load_dwordx4 v[10:13], v[0:1], off
	ds_read_b128 v[0:3], v20 offset:60000
	s_waitcnt lgkmcnt(0)
	v_add_f64 v[14:15], v[4:5], v[0:1]
	v_add_f64 v[0:1], v[4:5], -v[0:1]
	v_add_f64 v[8:9], v[6:7], v[2:3]
	v_add_f64 v[2:3], v[6:7], -v[2:3]
	v_mul_f64 v[6:7], v[0:1], 0.5
	v_mul_f64 v[0:1], v[2:3], 0.5
	;; [unrolled: 1-line block ×3, first 2 shown]
	s_waitcnt vmcnt(0)
	v_mul_f64 v[2:3], v[6:7], v[12:13]
	v_fma_f64 v[16:17], 0.5, v[14:15], v[2:3]
	v_fma_f64 v[8:9], v[4:5], v[12:13], v[0:1]
	v_fma_f64 v[12:13], v[4:5], v[12:13], -v[0:1]
	v_fma_f64 v[0:1], v[14:15], 0.5, -v[2:3]
	v_fmac_f64_e32 v[16:17], v[4:5], v[10:11]
	v_fma_f64 v[8:9], -v[10:11], v[6:7], v[8:9]
	v_fma_f64 v[0:1], -v[4:5], v[10:11], v[0:1]
	ds_write_b64 v238, v[16:17]
	v_fma_f64 v[2:3], -v[10:11], v[6:7], v[12:13]
                                        ; implicit-def: $vgpr4_vgpr5
.LBB0_15:
	s_or_saveexec_b64 s[8:9], s[8:9]
	v_accvgpr_read_b32 v10, a5
	v_sub_u32_e32 v16, 0, v10
	v_accvgpr_read_b32 v10, a6
	v_sub_u32_e32 v17, 0, v10
	s_xor_b64 exec, exec, s[8:9]
	s_cbranch_execz .LBB0_17
; %bb.16:
	v_mov_b32_e32 v12, 0
	ds_read_b64 v[2:3], v12 offset:30008
	v_mov_b64_e32 v[8:9], 0
	s_waitcnt lgkmcnt(1)
	v_add_f64 v[10:11], v[4:5], v[6:7]
	v_add_f64 v[0:1], v[4:5], -v[6:7]
	ds_write_b64 v238, v[10:11]
	s_waitcnt lgkmcnt(1)
	v_xor_b32_e32 v3, 0x80000000, v3
	ds_write_b64 v12, v[2:3] offset:30008
	v_mov_b64_e32 v[2:3], v[8:9]
.LBB0_17:
	s_or_b64 exec, exec, s[8:9]
	v_mov_b32_e32 v207, 0
	s_waitcnt lgkmcnt(0)
	v_lshl_add_u64 v[4:5], v[206:207], 4, s[4:5]
	global_load_dwordx4 v[4:7], v[4:5], off
	v_mov_b32_e32 v219, v207
	v_lshl_add_u64 v[10:11], v[218:219], 4, s[4:5]
	global_load_dwordx4 v[22:25], v[10:11], off
	v_mov_b32_e32 v217, v207
	v_lshl_add_u64 v[10:11], v[216:217], 4, s[4:5]
	global_load_dwordx4 v[12:15], v[10:11], off
	v_mov_b32_e32 v215, v207
	ds_write_b64 v238, v[8:9] offset:8
	ds_write_b128 v20, v[0:3] offset:60000
	v_lshl_add_u64 v[8:9], v[214:215], 4, s[4:5]
	ds_read_b128 v[0:3], v213
	ds_read_b128 v[26:29], v20 offset:58000
	global_load_dwordx4 v[8:11], v[8:9], off
	v_add_u32_e32 v206, 0x36b, v202
	s_waitcnt lgkmcnt(0)
	v_add_f64 v[18:19], v[0:1], v[26:27]
	v_add_f64 v[0:1], v[0:1], -v[26:27]
	v_add_f64 v[30:31], v[2:3], v[28:29]
	v_add_f64 v[2:3], v[2:3], -v[28:29]
	v_mul_f64 v[28:29], v[0:1], 0.5
	v_mul_f64 v[26:27], v[30:31], 0.5
	;; [unrolled: 1-line block ×3, first 2 shown]
	s_waitcnt vmcnt(3)
	v_mul_f64 v[30:31], v[28:29], v[6:7]
	v_fma_f64 v[2:3], v[26:27], v[6:7], v[0:1]
	v_fma_f64 v[6:7], v[26:27], v[6:7], -v[0:1]
	v_fma_f64 v[0:1], 0.5, v[18:19], v[30:31]
	v_fma_f64 v[2:3], -v[4:5], v[28:29], v[2:3]
	v_fma_f64 v[18:19], v[18:19], 0.5, -v[30:31]
	v_fmac_f64_e32 v[0:1], v[26:27], v[4:5]
	v_fma_f64 v[6:7], -v[4:5], v[28:29], v[6:7]
	v_fma_f64 v[4:5], -v[26:27], v[4:5], v[18:19]
	ds_write_b128 v213, v[0:3]
	ds_write_b128 v20, v[4:7] offset:58000
	v_mov_b32_e32 v213, v207
	v_lshl_add_u64 v[0:1], v[212:213], 4, s[4:5]
	ds_read_b128 v[4:7], v239
	ds_read_b128 v[26:29], v20 offset:56000
	global_load_dwordx4 v[0:3], v[0:1], off
	s_waitcnt lgkmcnt(0)
	v_add_f64 v[18:19], v[4:5], v[26:27]
	v_add_f64 v[4:5], v[4:5], -v[26:27]
	v_add_f64 v[30:31], v[6:7], v[28:29]
	v_add_f64 v[6:7], v[6:7], -v[28:29]
	v_mul_f64 v[28:29], v[4:5], 0.5
	v_mul_f64 v[26:27], v[30:31], 0.5
	;; [unrolled: 1-line block ×3, first 2 shown]
	s_waitcnt vmcnt(3)
	v_mul_f64 v[30:31], v[28:29], v[24:25]
	v_fma_f64 v[6:7], v[26:27], v[24:25], v[4:5]
	v_fma_f64 v[24:25], v[26:27], v[24:25], -v[4:5]
	v_fma_f64 v[4:5], 0.5, v[18:19], v[30:31]
	v_fma_f64 v[6:7], -v[22:23], v[28:29], v[6:7]
	v_fma_f64 v[18:19], v[18:19], 0.5, -v[30:31]
	v_fmac_f64_e32 v[4:5], v[26:27], v[22:23]
	v_fma_f64 v[24:25], -v[22:23], v[28:29], v[24:25]
	v_fma_f64 v[22:23], -v[26:27], v[22:23], v[18:19]
	ds_write_b128 v239, v[4:7]
	ds_write_b128 v20, v[22:25] offset:56000
	v_accvgpr_read_b32 v4, a2
	v_mov_b32_e32 v5, v207
	v_lshl_add_u64 v[4:5], v[4:5], 4, s[4:5]
	ds_read_b128 v[22:25], v241
	ds_read_b128 v[26:29], v20 offset:54000
	global_load_dwordx4 v[4:7], v[4:5], off
	s_waitcnt lgkmcnt(0)
	v_add_f64 v[18:19], v[22:23], v[26:27]
	v_add_f64 v[22:23], v[22:23], -v[26:27]
	v_add_f64 v[30:31], v[24:25], v[28:29]
	v_add_f64 v[24:25], v[24:25], -v[28:29]
	v_mul_f64 v[28:29], v[22:23], 0.5
	v_mul_f64 v[26:27], v[30:31], 0.5
	;; [unrolled: 1-line block ×3, first 2 shown]
	s_waitcnt vmcnt(3)
	v_mul_f64 v[30:31], v[28:29], v[14:15]
	v_fma_f64 v[24:25], v[26:27], v[14:15], v[22:23]
	v_fma_f64 v[14:15], v[26:27], v[14:15], -v[22:23]
	v_fma_f64 v[22:23], 0.5, v[18:19], v[30:31]
	v_fma_f64 v[18:19], v[18:19], 0.5, -v[30:31]
	v_fma_f64 v[24:25], -v[12:13], v[28:29], v[24:25]
	v_fma_f64 v[14:15], -v[12:13], v[28:29], v[14:15]
	v_fmac_f64_e32 v[22:23], v[26:27], v[12:13]
	v_fma_f64 v[12:13], -v[26:27], v[12:13], v[18:19]
	ds_write_b128 v241, v[22:25]
	ds_write_b128 v20, v[12:15] offset:54000
	v_accvgpr_read_b32 v12, a4
	v_add_u32_e32 v21, v12, v17
	v_lshl_add_u64 v[12:13], v[206:207], 4, s[4:5]
	ds_read_b128 v[22:25], v240
	ds_read_b128 v[26:29], v20 offset:52000
	global_load_dwordx4 v[12:15], v[12:13], off
	v_accvgpr_read_b32 v17, a3
	v_add_u32_e32 v206, 0x3e8, v202
	v_add_u32_e32 v32, v17, v16
	s_waitcnt lgkmcnt(0)
	v_add_f64 v[18:19], v[22:23], v[26:27]
	v_add_f64 v[22:23], v[22:23], -v[26:27]
	v_add_f64 v[30:31], v[24:25], v[28:29]
	v_add_f64 v[24:25], v[24:25], -v[28:29]
	v_mul_f64 v[28:29], v[22:23], 0.5
	v_mul_f64 v[26:27], v[30:31], 0.5
	;; [unrolled: 1-line block ×3, first 2 shown]
	s_waitcnt vmcnt(3)
	v_mul_f64 v[30:31], v[28:29], v[10:11]
	v_fma_f64 v[24:25], v[26:27], v[10:11], v[22:23]
	v_fma_f64 v[10:11], v[26:27], v[10:11], -v[22:23]
	v_fma_f64 v[22:23], 0.5, v[18:19], v[30:31]
	v_fma_f64 v[24:25], -v[8:9], v[28:29], v[24:25]
	v_fma_f64 v[18:19], v[18:19], 0.5, -v[30:31]
	v_fmac_f64_e32 v[22:23], v[26:27], v[8:9]
	v_fma_f64 v[10:11], -v[8:9], v[28:29], v[10:11]
	v_fma_f64 v[8:9], -v[26:27], v[8:9], v[18:19]
	ds_write_b128 v240, v[22:25]
	ds_write_b128 v20, v[8:11] offset:52000
	v_lshl_add_u64 v[16:17], v[206:207], 4, s[4:5]
	ds_read_b128 v[8:11], v21
	ds_read_b128 v[22:25], v20 offset:50000
	global_load_dwordx4 v[16:19], v[16:17], off
	v_add_u32_e32 v206, 0x4e2, v202
	s_waitcnt lgkmcnt(0)
	v_add_f64 v[26:27], v[8:9], v[22:23]
	v_add_f64 v[8:9], v[8:9], -v[22:23]
	v_add_f64 v[28:29], v[10:11], v[24:25]
	v_add_f64 v[10:11], v[10:11], -v[24:25]
	v_mul_f64 v[24:25], v[8:9], 0.5
	v_mul_f64 v[22:23], v[28:29], 0.5
	;; [unrolled: 1-line block ×3, first 2 shown]
	s_waitcnt vmcnt(3)
	v_mul_f64 v[28:29], v[24:25], v[2:3]
	v_fma_f64 v[10:11], v[22:23], v[2:3], v[8:9]
	v_fma_f64 v[2:3], v[22:23], v[2:3], -v[8:9]
	v_fma_f64 v[8:9], 0.5, v[26:27], v[28:29]
	v_fma_f64 v[26:27], v[26:27], 0.5, -v[28:29]
	v_fma_f64 v[10:11], -v[0:1], v[24:25], v[10:11]
	v_fma_f64 v[2:3], -v[0:1], v[24:25], v[2:3]
	v_fmac_f64_e32 v[8:9], v[22:23], v[0:1]
	v_fma_f64 v[0:1], -v[22:23], v[0:1], v[26:27]
	ds_write_b128 v21, v[8:11]
	ds_write_b128 v20, v[0:3] offset:50000
	v_accvgpr_read_b32 v0, a0
	v_mov_b32_e32 v1, v207
	v_lshl_add_u64 v[0:1], v[0:1], 4, s[4:5]
	ds_read_b128 v[8:11], v32
	ds_read_b128 v[22:25], v20 offset:48000
	global_load_dwordx4 v[0:3], v[0:1], off
	v_accvgpr_read_b32 v21, a7
	s_waitcnt lgkmcnt(0)
	v_add_f64 v[26:27], v[8:9], v[22:23]
	v_add_f64 v[8:9], v[8:9], -v[22:23]
	v_add_f64 v[28:29], v[10:11], v[24:25]
	v_add_f64 v[10:11], v[10:11], -v[24:25]
	v_mul_f64 v[24:25], v[8:9], 0.5
	v_mul_f64 v[22:23], v[28:29], 0.5
	;; [unrolled: 1-line block ×3, first 2 shown]
	s_waitcnt vmcnt(3)
	v_mul_f64 v[30:31], v[24:25], v[6:7]
	v_fma_f64 v[8:9], 0.5, v[26:27], v[30:31]
	v_fma_f64 v[10:11], v[22:23], v[6:7], v[28:29]
	v_fmac_f64_e32 v[8:9], v[22:23], v[4:5]
	v_fma_f64 v[10:11], -v[4:5], v[24:25], v[10:11]
	ds_write_b128 v32, v[8:11]
	v_fma_f64 v[8:9], v[26:27], 0.5, -v[30:31]
	v_fma_f64 v[6:7], v[22:23], v[6:7], -v[28:29]
	v_fma_f64 v[8:9], -v[22:23], v[4:5], v[8:9]
	v_fma_f64 v[10:11], -v[4:5], v[24:25], v[6:7]
	ds_write_b128 v20, v[8:11] offset:48000
	v_lshl_add_u64 v[4:5], v[206:207], 4, s[4:5]
	ds_read_b128 v[8:11], v238 offset:14000
	ds_read_b128 v[22:25], v20 offset:46000
	global_load_dwordx4 v[4:7], v[4:5], off
	v_add_u32_e32 v206, 0x55f, v202
	s_waitcnt lgkmcnt(0)
	v_add_f64 v[26:27], v[8:9], v[22:23]
	v_add_f64 v[8:9], v[8:9], -v[22:23]
	v_add_f64 v[28:29], v[10:11], v[24:25]
	v_add_f64 v[10:11], v[10:11], -v[24:25]
	v_mul_f64 v[22:23], v[8:9], 0.5
	v_mul_f64 v[28:29], v[28:29], 0.5
	v_mul_f64 v[24:25], v[10:11], 0.5
	s_waitcnt vmcnt(3)
	v_mul_f64 v[30:31], v[22:23], v[14:15]
	v_fma_f64 v[8:9], 0.5, v[26:27], v[30:31]
	v_fma_f64 v[10:11], v[28:29], v[14:15], v[24:25]
	v_fmac_f64_e32 v[8:9], v[28:29], v[12:13]
	v_fma_f64 v[10:11], -v[12:13], v[22:23], v[10:11]
	ds_write_b128 v238, v[8:11] offset:14000
	v_fma_f64 v[8:9], v[26:27], 0.5, -v[30:31]
	v_fma_f64 v[10:11], v[28:29], v[14:15], -v[24:25]
	v_fma_f64 v[8:9], -v[28:29], v[12:13], v[8:9]
	v_fma_f64 v[10:11], -v[12:13], v[22:23], v[10:11]
	ds_write_b128 v20, v[8:11] offset:46000
	v_lshl_add_u64 v[8:9], v[206:207], 4, s[4:5]
	ds_read_b128 v[12:15], v238 offset:16000
	ds_read_b128 v[22:25], v20 offset:44000
	global_load_dwordx4 v[8:11], v[8:9], off
	v_add_u32_e32 v206, 0x5dc, v202
	s_waitcnt lgkmcnt(0)
	v_add_f64 v[26:27], v[12:13], v[22:23]
	v_add_f64 v[12:13], v[12:13], -v[22:23]
	v_add_f64 v[28:29], v[14:15], v[24:25]
	v_add_f64 v[14:15], v[14:15], -v[24:25]
	v_mul_f64 v[22:23], v[12:13], 0.5
	v_mul_f64 v[28:29], v[28:29], 0.5
	;; [unrolled: 1-line block ×3, first 2 shown]
	s_waitcnt vmcnt(3)
	v_mul_f64 v[30:31], v[22:23], v[18:19]
	v_fma_f64 v[12:13], 0.5, v[26:27], v[30:31]
	v_fma_f64 v[14:15], v[28:29], v[18:19], v[24:25]
	v_fmac_f64_e32 v[12:13], v[28:29], v[16:17]
	v_fma_f64 v[14:15], -v[16:17], v[22:23], v[14:15]
	ds_write_b128 v238, v[12:15] offset:16000
	v_fma_f64 v[12:13], v[26:27], 0.5, -v[30:31]
	v_fma_f64 v[14:15], v[28:29], v[18:19], -v[24:25]
	v_fma_f64 v[12:13], -v[28:29], v[16:17], v[12:13]
	v_fma_f64 v[14:15], -v[16:17], v[22:23], v[14:15]
	ds_write_b128 v20, v[12:15] offset:44000
	v_lshl_add_u64 v[22:23], v[206:207], 4, s[4:5]
	ds_read_b128 v[12:15], v21
	ds_read_b128 v[16:19], v20 offset:42000
	global_load_dwordx4 v[22:25], v[22:23], off
	v_add_u32_e32 v206, 0x659, v202
	s_waitcnt lgkmcnt(0)
	v_add_f64 v[26:27], v[12:13], v[16:17]
	v_add_f64 v[12:13], v[12:13], -v[16:17]
	v_add_f64 v[28:29], v[14:15], v[18:19]
	v_add_f64 v[14:15], v[14:15], -v[18:19]
	v_mul_f64 v[16:17], v[12:13], 0.5
	v_mul_f64 v[28:29], v[28:29], 0.5
	;; [unrolled: 1-line block ×3, first 2 shown]
	s_waitcnt vmcnt(3)
	v_mul_f64 v[30:31], v[16:17], v[2:3]
	v_fma_f64 v[12:13], 0.5, v[26:27], v[30:31]
	v_fma_f64 v[14:15], v[28:29], v[2:3], v[18:19]
	v_fmac_f64_e32 v[12:13], v[28:29], v[0:1]
	v_fma_f64 v[14:15], -v[0:1], v[16:17], v[14:15]
	ds_write_b128 v21, v[12:15]
	v_fma_f64 v[12:13], v[26:27], 0.5, -v[30:31]
	v_fma_f64 v[2:3], v[28:29], v[2:3], -v[18:19]
	v_fma_f64 v[12:13], -v[28:29], v[0:1], v[12:13]
	v_fma_f64 v[14:15], -v[0:1], v[16:17], v[2:3]
	ds_write_b128 v20, v[12:15] offset:42000
	v_lshl_add_u64 v[16:17], v[206:207], 4, s[4:5]
	ds_read_b128 v[0:3], v238 offset:20000
	ds_read_b128 v[12:15], v20 offset:40000
	global_load_dwordx4 v[16:19], v[16:17], off
	v_add_u32_e32 v206, 0x6d6, v202
	s_waitcnt lgkmcnt(0)
	v_add_f64 v[26:27], v[0:1], v[12:13]
	v_add_f64 v[0:1], v[0:1], -v[12:13]
	v_add_f64 v[28:29], v[2:3], v[14:15]
	v_add_f64 v[2:3], v[2:3], -v[14:15]
	v_mul_f64 v[12:13], v[0:1], 0.5
	v_mul_f64 v[28:29], v[28:29], 0.5
	;; [unrolled: 1-line block ×3, first 2 shown]
	s_waitcnt vmcnt(3)
	v_mul_f64 v[30:31], v[12:13], v[6:7]
	v_fma_f64 v[0:1], 0.5, v[26:27], v[30:31]
	v_fma_f64 v[2:3], v[28:29], v[6:7], v[14:15]
	v_fmac_f64_e32 v[0:1], v[28:29], v[4:5]
	v_fma_f64 v[2:3], -v[4:5], v[12:13], v[2:3]
	ds_write_b128 v238, v[0:3] offset:20000
	v_fma_f64 v[0:1], v[26:27], 0.5, -v[30:31]
	v_fma_f64 v[2:3], v[28:29], v[6:7], -v[14:15]
	v_fma_f64 v[0:1], -v[28:29], v[4:5], v[0:1]
	v_fma_f64 v[2:3], -v[4:5], v[12:13], v[2:3]
	ds_write_b128 v20, v[0:3] offset:40000
	v_lshl_add_u64 v[12:13], v[206:207], 4, s[4:5]
	ds_read_b128 v[0:3], v238 offset:22000
	ds_read_b128 v[4:7], v20 offset:38000
	global_load_dwordx4 v[12:15], v[12:13], off
	s_waitcnt lgkmcnt(0)
	v_add_f64 v[26:27], v[0:1], v[4:5]
	v_add_f64 v[0:1], v[0:1], -v[4:5]
	v_add_f64 v[28:29], v[2:3], v[6:7]
	v_add_f64 v[2:3], v[2:3], -v[6:7]
	v_mul_f64 v[4:5], v[0:1], 0.5
	v_mul_f64 v[28:29], v[28:29], 0.5
	v_mul_f64 v[6:7], v[2:3], 0.5
	s_waitcnt vmcnt(3)
	v_mul_f64 v[30:31], v[4:5], v[10:11]
	v_fma_f64 v[0:1], 0.5, v[26:27], v[30:31]
	v_fma_f64 v[2:3], v[28:29], v[10:11], v[6:7]
	v_fmac_f64_e32 v[0:1], v[28:29], v[8:9]
	v_fma_f64 v[2:3], -v[8:9], v[4:5], v[2:3]
	ds_write_b128 v238, v[0:3] offset:22000
	v_fma_f64 v[0:1], v[26:27], 0.5, -v[30:31]
	v_fma_f64 v[2:3], v[28:29], v[10:11], -v[6:7]
	v_fma_f64 v[0:1], -v[28:29], v[8:9], v[0:1]
	v_fma_f64 v[2:3], -v[8:9], v[4:5], v[2:3]
	ds_write_b128 v20, v[0:3] offset:38000
	ds_read_b128 v[0:3], v238 offset:24000
	ds_read_b128 v[4:7], v20 offset:36000
	s_waitcnt lgkmcnt(0)
	v_add_f64 v[8:9], v[0:1], v[4:5]
	v_add_f64 v[0:1], v[0:1], -v[4:5]
	v_add_f64 v[10:11], v[2:3], v[6:7]
	v_add_f64 v[2:3], v[2:3], -v[6:7]
	v_mul_f64 v[4:5], v[0:1], 0.5
	v_mul_f64 v[10:11], v[10:11], 0.5
	v_mul_f64 v[6:7], v[2:3], 0.5
	s_waitcnt vmcnt(2)
	v_mul_f64 v[26:27], v[4:5], v[24:25]
	v_fma_f64 v[0:1], 0.5, v[8:9], v[26:27]
	v_fma_f64 v[2:3], v[10:11], v[24:25], v[6:7]
	v_fmac_f64_e32 v[0:1], v[10:11], v[22:23]
	v_fma_f64 v[2:3], -v[22:23], v[4:5], v[2:3]
	ds_write_b128 v238, v[0:3] offset:24000
	v_fma_f64 v[0:1], v[8:9], 0.5, -v[26:27]
	v_fma_f64 v[2:3], v[10:11], v[24:25], -v[6:7]
	v_fma_f64 v[0:1], -v[10:11], v[22:23], v[0:1]
	v_fma_f64 v[2:3], -v[22:23], v[4:5], v[2:3]
	ds_write_b128 v20, v[0:3] offset:36000
	ds_read_b128 v[0:3], v238 offset:26000
	ds_read_b128 v[4:7], v20 offset:34000
	;; [unrolled: 22-line block ×3, first 2 shown]
	s_waitcnt lgkmcnt(0)
	v_add_f64 v[8:9], v[0:1], v[4:5]
	v_add_f64 v[0:1], v[0:1], -v[4:5]
	v_add_f64 v[10:11], v[2:3], v[6:7]
	v_add_f64 v[2:3], v[2:3], -v[6:7]
	v_mul_f64 v[4:5], v[0:1], 0.5
	v_mul_f64 v[10:11], v[10:11], 0.5
	;; [unrolled: 1-line block ×3, first 2 shown]
	s_waitcnt vmcnt(0)
	v_mul_f64 v[16:17], v[4:5], v[14:15]
	v_fma_f64 v[0:1], 0.5, v[8:9], v[16:17]
	v_fma_f64 v[2:3], v[10:11], v[14:15], v[6:7]
	v_fmac_f64_e32 v[0:1], v[10:11], v[12:13]
	v_fma_f64 v[2:3], -v[12:13], v[4:5], v[2:3]
	ds_write_b128 v238, v[0:3] offset:28000
	v_fma_f64 v[0:1], v[8:9], 0.5, -v[16:17]
	v_fma_f64 v[2:3], v[10:11], v[14:15], -v[6:7]
	v_fma_f64 v[0:1], -v[10:11], v[12:13], v[0:1]
	v_fma_f64 v[2:3], -v[12:13], v[4:5], v[2:3]
	ds_write_b128 v20, v[0:3] offset:32000
	s_waitcnt lgkmcnt(0)
	s_barrier
	s_and_saveexec_b64 s[4:5], s[0:1]
	s_cbranch_execz .LBB0_20
; %bb.18:
	v_mul_lo_u32 v2, s3, v204
	v_mul_lo_u32 v3, s2, v205
	v_mad_u64_u32 v[0:1], s[0:1], s2, v204, 0
	v_lshl_add_u32 v16, v202, 4, 0
	v_add3_u32 v1, v1, v3, v2
	ds_read_b128 v[2:5], v16
	v_lshl_add_u64 v[0:1], v[0:1], 4, s[6:7]
	v_mov_b32_e32 v203, v207
	v_lshl_add_u64 v[0:1], v[200:201], 4, v[0:1]
	v_lshl_add_u64 v[14:15], v[202:203], 4, v[0:1]
	ds_read_b128 v[6:9], v16 offset:58000
	ds_read_b128 v[10:13], v16 offset:2000
	s_waitcnt lgkmcnt(2)
	global_store_dwordx4 v[14:15], v[2:5], off
	ds_read_b128 v[2:5], v16 offset:4000
	v_add_u32_e32 v206, 0x7d, v202
	v_lshl_add_u64 v[14:15], v[206:207], 4, v[0:1]
	v_add_u32_e32 v206, 0xfa, v202
	s_waitcnt lgkmcnt(1)
	global_store_dwordx4 v[14:15], v[10:13], off
	ds_read_b128 v[10:13], v16 offset:6000
	v_lshl_add_u64 v[14:15], v[206:207], 4, v[0:1]
	s_waitcnt lgkmcnt(1)
	global_store_dwordx4 v[14:15], v[2:5], off
	ds_read_b128 v[2:5], v16 offset:8000
	v_add_u32_e32 v206, 0x177, v202
	v_lshl_add_u64 v[14:15], v[206:207], 4, v[0:1]
	v_add_u32_e32 v206, 0x1f4, v202
	s_waitcnt lgkmcnt(1)
	global_store_dwordx4 v[14:15], v[10:13], off
	ds_read_b128 v[10:13], v16 offset:10000
	v_lshl_add_u64 v[14:15], v[206:207], 4, v[0:1]
	;; [unrolled: 10-line block ×7, first 2 shown]
	s_waitcnt lgkmcnt(1)
	global_store_dwordx4 v[14:15], v[2:5], off
	ds_read_b128 v[2:5], v16 offset:32000
	v_add_u32_e32 v206, 0x753, v202
	v_lshl_add_u64 v[14:15], v[206:207], 4, v[0:1]
	v_add_u32_e32 v206, 0x7d0, v202
	s_waitcnt lgkmcnt(1)
	global_store_dwordx4 v[14:15], v[10:13], off
	v_lshl_add_u64 v[14:15], v[206:207], 4, v[0:1]
	ds_read_b128 v[10:13], v16 offset:34000
	s_waitcnt lgkmcnt(1)
	global_store_dwordx4 v[14:15], v[2:5], off
	ds_read_b128 v[2:5], v16 offset:36000
	v_add_u32_e32 v206, 0x84d, v202
	v_lshl_add_u64 v[14:15], v[206:207], 4, v[0:1]
	v_add_u32_e32 v206, 0x8ca, v202
	s_waitcnt lgkmcnt(1)
	global_store_dwordx4 v[14:15], v[10:13], off
	v_lshl_add_u64 v[14:15], v[206:207], 4, v[0:1]
	ds_read_b128 v[10:13], v16 offset:38000
	;; [unrolled: 10-line block ×6, first 2 shown]
	s_waitcnt lgkmcnt(1)
	global_store_dwordx4 v[14:15], v[2:5], off
	ds_read_b128 v[2:5], v16 offset:56000
	v_add_u32_e32 v206, 0xd2f, v202
	v_lshl_add_u64 v[14:15], v[206:207], 4, v[0:1]
	v_add_u32_e32 v206, 0xdac, v202
	s_waitcnt lgkmcnt(1)
	global_store_dwordx4 v[14:15], v[10:13], off
	s_movk_i32 s0, 0x7c
	v_cmp_eq_u32_e32 vcc, s0, v202
	v_lshl_add_u64 v[10:11], v[206:207], 4, v[0:1]
	v_add_u32_e32 v206, 0xe29, v202
	s_waitcnt lgkmcnt(0)
	global_store_dwordx4 v[10:11], v[2:5], off
	s_nop 1
	v_lshl_add_u64 v[2:3], v[206:207], 4, v[0:1]
	global_store_dwordx4 v[2:3], v[6:9], off
	s_and_b64 exec, exec, vcc
	s_cbranch_execz .LBB0_20
; %bb.19:
	v_mov_b32_e32 v2, 0
	ds_read_b128 v[2:5], v2 offset:60000
	v_add_co_u32_e32 v0, vcc, 0xe000, v0
	s_nop 1
	v_addc_co_u32_e32 v1, vcc, 0, v1, vcc
	s_waitcnt lgkmcnt(0)
	global_store_dwordx4 v[0:1], v[2:5], off offset:2656
.LBB0_20:
	s_endpgm
	.section	.rodata,"a",@progbits
	.p2align	6, 0x0
	.amdhsa_kernel fft_rtc_back_len3750_factors_3_5_5_10_5_wgs_125_tpt_125_halfLds_dp_op_CI_CI_unitstride_sbrr_R2C_dirReg
		.amdhsa_group_segment_fixed_size 0
		.amdhsa_private_segment_fixed_size 0
		.amdhsa_kernarg_size 104
		.amdhsa_user_sgpr_count 2
		.amdhsa_user_sgpr_dispatch_ptr 0
		.amdhsa_user_sgpr_queue_ptr 0
		.amdhsa_user_sgpr_kernarg_segment_ptr 1
		.amdhsa_user_sgpr_dispatch_id 0
		.amdhsa_user_sgpr_kernarg_preload_length 0
		.amdhsa_user_sgpr_kernarg_preload_offset 0
		.amdhsa_user_sgpr_private_segment_size 0
		.amdhsa_uses_dynamic_stack 0
		.amdhsa_enable_private_segment 0
		.amdhsa_system_sgpr_workgroup_id_x 1
		.amdhsa_system_sgpr_workgroup_id_y 0
		.amdhsa_system_sgpr_workgroup_id_z 0
		.amdhsa_system_sgpr_workgroup_info 0
		.amdhsa_system_vgpr_workitem_id 0
		.amdhsa_next_free_vgpr 264
		.amdhsa_next_free_sgpr 28
		.amdhsa_accum_offset 256
		.amdhsa_reserve_vcc 1
		.amdhsa_float_round_mode_32 0
		.amdhsa_float_round_mode_16_64 0
		.amdhsa_float_denorm_mode_32 3
		.amdhsa_float_denorm_mode_16_64 3
		.amdhsa_dx10_clamp 1
		.amdhsa_ieee_mode 1
		.amdhsa_fp16_overflow 0
		.amdhsa_tg_split 0
		.amdhsa_exception_fp_ieee_invalid_op 0
		.amdhsa_exception_fp_denorm_src 0
		.amdhsa_exception_fp_ieee_div_zero 0
		.amdhsa_exception_fp_ieee_overflow 0
		.amdhsa_exception_fp_ieee_underflow 0
		.amdhsa_exception_fp_ieee_inexact 0
		.amdhsa_exception_int_div_zero 0
	.end_amdhsa_kernel
	.text
.Lfunc_end0:
	.size	fft_rtc_back_len3750_factors_3_5_5_10_5_wgs_125_tpt_125_halfLds_dp_op_CI_CI_unitstride_sbrr_R2C_dirReg, .Lfunc_end0-fft_rtc_back_len3750_factors_3_5_5_10_5_wgs_125_tpt_125_halfLds_dp_op_CI_CI_unitstride_sbrr_R2C_dirReg
                                        ; -- End function
	.section	.AMDGPU.csdata,"",@progbits
; Kernel info:
; codeLenInByte = 24564
; NumSgprs: 34
; NumVgprs: 256
; NumAgprs: 8
; TotalNumVgprs: 264
; ScratchSize: 0
; MemoryBound: 0
; FloatMode: 240
; IeeeMode: 1
; LDSByteSize: 0 bytes/workgroup (compile time only)
; SGPRBlocks: 4
; VGPRBlocks: 32
; NumSGPRsForWavesPerEU: 34
; NumVGPRsForWavesPerEU: 264
; AccumOffset: 256
; Occupancy: 1
; WaveLimiterHint : 1
; COMPUTE_PGM_RSRC2:SCRATCH_EN: 0
; COMPUTE_PGM_RSRC2:USER_SGPR: 2
; COMPUTE_PGM_RSRC2:TRAP_HANDLER: 0
; COMPUTE_PGM_RSRC2:TGID_X_EN: 1
; COMPUTE_PGM_RSRC2:TGID_Y_EN: 0
; COMPUTE_PGM_RSRC2:TGID_Z_EN: 0
; COMPUTE_PGM_RSRC2:TIDIG_COMP_CNT: 0
; COMPUTE_PGM_RSRC3_GFX90A:ACCUM_OFFSET: 63
; COMPUTE_PGM_RSRC3_GFX90A:TG_SPLIT: 0
	.text
	.p2alignl 6, 3212836864
	.fill 256, 4, 3212836864
	.type	__hip_cuid_4da15d22b6a64af8,@object ; @__hip_cuid_4da15d22b6a64af8
	.section	.bss,"aw",@nobits
	.globl	__hip_cuid_4da15d22b6a64af8
__hip_cuid_4da15d22b6a64af8:
	.byte	0                               ; 0x0
	.size	__hip_cuid_4da15d22b6a64af8, 1

	.ident	"AMD clang version 19.0.0git (https://github.com/RadeonOpenCompute/llvm-project roc-6.4.0 25133 c7fe45cf4b819c5991fe208aaa96edf142730f1d)"
	.section	".note.GNU-stack","",@progbits
	.addrsig
	.addrsig_sym __hip_cuid_4da15d22b6a64af8
	.amdgpu_metadata
---
amdhsa.kernels:
  - .agpr_count:     8
    .args:
      - .actual_access:  read_only
        .address_space:  global
        .offset:         0
        .size:           8
        .value_kind:     global_buffer
      - .offset:         8
        .size:           8
        .value_kind:     by_value
      - .actual_access:  read_only
        .address_space:  global
        .offset:         16
        .size:           8
        .value_kind:     global_buffer
      - .actual_access:  read_only
        .address_space:  global
        .offset:         24
        .size:           8
        .value_kind:     global_buffer
      - .actual_access:  read_only
        .address_space:  global
        .offset:         32
        .size:           8
        .value_kind:     global_buffer
      - .offset:         40
        .size:           8
        .value_kind:     by_value
      - .actual_access:  read_only
        .address_space:  global
        .offset:         48
        .size:           8
        .value_kind:     global_buffer
      - .actual_access:  read_only
        .address_space:  global
        .offset:         56
        .size:           8
        .value_kind:     global_buffer
      - .offset:         64
        .size:           4
        .value_kind:     by_value
      - .actual_access:  read_only
        .address_space:  global
        .offset:         72
        .size:           8
        .value_kind:     global_buffer
      - .actual_access:  read_only
        .address_space:  global
        .offset:         80
        .size:           8
        .value_kind:     global_buffer
      - .actual_access:  read_only
        .address_space:  global
        .offset:         88
        .size:           8
        .value_kind:     global_buffer
      - .actual_access:  write_only
        .address_space:  global
        .offset:         96
        .size:           8
        .value_kind:     global_buffer
    .group_segment_fixed_size: 0
    .kernarg_segment_align: 8
    .kernarg_segment_size: 104
    .language:       OpenCL C
    .language_version:
      - 2
      - 0
    .max_flat_workgroup_size: 125
    .name:           fft_rtc_back_len3750_factors_3_5_5_10_5_wgs_125_tpt_125_halfLds_dp_op_CI_CI_unitstride_sbrr_R2C_dirReg
    .private_segment_fixed_size: 0
    .sgpr_count:     34
    .sgpr_spill_count: 0
    .symbol:         fft_rtc_back_len3750_factors_3_5_5_10_5_wgs_125_tpt_125_halfLds_dp_op_CI_CI_unitstride_sbrr_R2C_dirReg.kd
    .uniform_work_group_size: 1
    .uses_dynamic_stack: false
    .vgpr_count:     264
    .vgpr_spill_count: 0
    .wavefront_size: 64
amdhsa.target:   amdgcn-amd-amdhsa--gfx950
amdhsa.version:
  - 1
  - 2
...

	.end_amdgpu_metadata
